;; amdgpu-corpus repo=ROCm/rocFFT kind=compiled arch=gfx906 opt=O3
	.text
	.amdgcn_target "amdgcn-amd-amdhsa--gfx906"
	.amdhsa_code_object_version 6
	.protected	fft_rtc_back_len2028_factors_13_4_3_13_wgs_156_tpt_156_dp_op_CI_CI_sbrr_dirReg ; -- Begin function fft_rtc_back_len2028_factors_13_4_3_13_wgs_156_tpt_156_dp_op_CI_CI_sbrr_dirReg
	.globl	fft_rtc_back_len2028_factors_13_4_3_13_wgs_156_tpt_156_dp_op_CI_CI_sbrr_dirReg
	.p2align	8
	.type	fft_rtc_back_len2028_factors_13_4_3_13_wgs_156_tpt_156_dp_op_CI_CI_sbrr_dirReg,@function
fft_rtc_back_len2028_factors_13_4_3_13_wgs_156_tpt_156_dp_op_CI_CI_sbrr_dirReg: ; @fft_rtc_back_len2028_factors_13_4_3_13_wgs_156_tpt_156_dp_op_CI_CI_sbrr_dirReg
; %bb.0:
	s_load_dwordx4 s[16:19], s[4:5], 0x18
	s_load_dwordx4 s[12:15], s[4:5], 0x0
	;; [unrolled: 1-line block ×3, first 2 shown]
	v_mul_u32_u24_e32 v1, 0x1a5, v0
	v_add_u32_sdwa v6, s6, v1 dst_sel:DWORD dst_unused:UNUSED_PAD src0_sel:DWORD src1_sel:WORD_1
	s_waitcnt lgkmcnt(0)
	s_load_dwordx2 s[20:21], s[16:17], 0x0
	s_load_dwordx2 s[2:3], s[18:19], 0x0
	v_cmp_lt_u64_e64 s[0:1], s[14:15], 2
	v_mov_b32_e32 v1, 0
	v_mov_b32_e32 v4, 0
	;; [unrolled: 1-line block ×3, first 2 shown]
	s_and_b64 vcc, exec, s[0:1]
	v_mov_b32_e32 v5, 0
	s_cbranch_vccnz .LBB0_8
; %bb.1:
	s_load_dwordx2 s[0:1], s[4:5], 0x10
	s_add_u32 s6, s18, 8
	s_addc_u32 s7, s19, 0
	s_add_u32 s22, s16, 8
	v_mov_b32_e32 v4, 0
	s_addc_u32 s23, s17, 0
	v_mov_b32_e32 v5, 0
	s_waitcnt lgkmcnt(0)
	s_add_u32 s24, s0, 8
	v_mov_b32_e32 v65, v5
	s_addc_u32 s25, s1, 0
	s_mov_b64 s[26:27], 1
	v_mov_b32_e32 v64, v4
.LBB0_2:                                ; =>This Inner Loop Header: Depth=1
	s_load_dwordx2 s[28:29], s[24:25], 0x0
                                        ; implicit-def: $vgpr66_vgpr67
	s_waitcnt lgkmcnt(0)
	v_or_b32_e32 v2, s29, v7
	v_cmp_ne_u64_e32 vcc, 0, v[1:2]
	s_and_saveexec_b64 s[0:1], vcc
	s_xor_b64 s[30:31], exec, s[0:1]
	s_cbranch_execz .LBB0_4
; %bb.3:                                ;   in Loop: Header=BB0_2 Depth=1
	v_cvt_f32_u32_e32 v2, s28
	v_cvt_f32_u32_e32 v3, s29
	s_sub_u32 s0, 0, s28
	s_subb_u32 s1, 0, s29
	v_mac_f32_e32 v2, 0x4f800000, v3
	v_rcp_f32_e32 v2, v2
	v_mul_f32_e32 v2, 0x5f7ffffc, v2
	v_mul_f32_e32 v3, 0x2f800000, v2
	v_trunc_f32_e32 v3, v3
	v_mac_f32_e32 v2, 0xcf800000, v3
	v_cvt_u32_f32_e32 v3, v3
	v_cvt_u32_f32_e32 v2, v2
	v_mul_lo_u32 v8, s0, v3
	v_mul_hi_u32 v9, s0, v2
	v_mul_lo_u32 v11, s1, v2
	v_mul_lo_u32 v10, s0, v2
	v_add_u32_e32 v8, v9, v8
	v_add_u32_e32 v8, v8, v11
	v_mul_hi_u32 v9, v2, v10
	v_mul_lo_u32 v11, v2, v8
	v_mul_hi_u32 v13, v2, v8
	v_mul_hi_u32 v12, v3, v10
	v_mul_lo_u32 v10, v3, v10
	v_mul_hi_u32 v14, v3, v8
	v_add_co_u32_e32 v9, vcc, v9, v11
	v_addc_co_u32_e32 v11, vcc, 0, v13, vcc
	v_mul_lo_u32 v8, v3, v8
	v_add_co_u32_e32 v9, vcc, v9, v10
	v_addc_co_u32_e32 v9, vcc, v11, v12, vcc
	v_addc_co_u32_e32 v10, vcc, 0, v14, vcc
	v_add_co_u32_e32 v8, vcc, v9, v8
	v_addc_co_u32_e32 v9, vcc, 0, v10, vcc
	v_add_co_u32_e32 v2, vcc, v2, v8
	v_addc_co_u32_e32 v3, vcc, v3, v9, vcc
	v_mul_lo_u32 v8, s0, v3
	v_mul_hi_u32 v9, s0, v2
	v_mul_lo_u32 v10, s1, v2
	v_mul_lo_u32 v11, s0, v2
	v_add_u32_e32 v8, v9, v8
	v_add_u32_e32 v8, v8, v10
	v_mul_lo_u32 v12, v2, v8
	v_mul_hi_u32 v13, v2, v11
	v_mul_hi_u32 v14, v2, v8
	;; [unrolled: 1-line block ×3, first 2 shown]
	v_mul_lo_u32 v11, v3, v11
	v_mul_hi_u32 v9, v3, v8
	v_add_co_u32_e32 v12, vcc, v13, v12
	v_addc_co_u32_e32 v13, vcc, 0, v14, vcc
	v_mul_lo_u32 v8, v3, v8
	v_add_co_u32_e32 v11, vcc, v12, v11
	v_addc_co_u32_e32 v10, vcc, v13, v10, vcc
	v_addc_co_u32_e32 v9, vcc, 0, v9, vcc
	v_add_co_u32_e32 v8, vcc, v10, v8
	v_addc_co_u32_e32 v9, vcc, 0, v9, vcc
	v_add_co_u32_e32 v8, vcc, v2, v8
	v_addc_co_u32_e32 v9, vcc, v3, v9, vcc
	v_mad_u64_u32 v[2:3], s[0:1], v6, v9, 0
	v_mul_hi_u32 v10, v6, v8
	v_add_co_u32_e32 v10, vcc, v10, v2
	v_addc_co_u32_e32 v11, vcc, 0, v3, vcc
	v_mad_u64_u32 v[2:3], s[0:1], v7, v8, 0
	v_mad_u64_u32 v[8:9], s[0:1], v7, v9, 0
	v_add_co_u32_e32 v2, vcc, v10, v2
	v_addc_co_u32_e32 v2, vcc, v11, v3, vcc
	v_addc_co_u32_e32 v3, vcc, 0, v9, vcc
	v_add_co_u32_e32 v8, vcc, v2, v8
	v_addc_co_u32_e32 v9, vcc, 0, v3, vcc
	v_mul_lo_u32 v10, s29, v8
	v_mul_lo_u32 v11, s28, v9
	v_mad_u64_u32 v[2:3], s[0:1], s28, v8, 0
	v_add3_u32 v3, v3, v11, v10
	v_sub_u32_e32 v10, v7, v3
	v_mov_b32_e32 v11, s29
	v_sub_co_u32_e32 v2, vcc, v6, v2
	v_subb_co_u32_e64 v10, s[0:1], v10, v11, vcc
	v_subrev_co_u32_e64 v11, s[0:1], s28, v2
	v_subbrev_co_u32_e64 v10, s[0:1], 0, v10, s[0:1]
	v_cmp_le_u32_e64 s[0:1], s29, v10
	v_cndmask_b32_e64 v12, 0, -1, s[0:1]
	v_cmp_le_u32_e64 s[0:1], s28, v11
	v_cndmask_b32_e64 v11, 0, -1, s[0:1]
	v_cmp_eq_u32_e64 s[0:1], s29, v10
	v_cndmask_b32_e64 v10, v12, v11, s[0:1]
	v_add_co_u32_e64 v11, s[0:1], 2, v8
	v_addc_co_u32_e64 v12, s[0:1], 0, v9, s[0:1]
	v_add_co_u32_e64 v13, s[0:1], 1, v8
	v_addc_co_u32_e64 v14, s[0:1], 0, v9, s[0:1]
	v_subb_co_u32_e32 v3, vcc, v7, v3, vcc
	v_cmp_ne_u32_e64 s[0:1], 0, v10
	v_cmp_le_u32_e32 vcc, s29, v3
	v_cndmask_b32_e64 v10, v14, v12, s[0:1]
	v_cndmask_b32_e64 v12, 0, -1, vcc
	v_cmp_le_u32_e32 vcc, s28, v2
	v_cndmask_b32_e64 v2, 0, -1, vcc
	v_cmp_eq_u32_e32 vcc, s29, v3
	v_cndmask_b32_e32 v2, v12, v2, vcc
	v_cmp_ne_u32_e32 vcc, 0, v2
	v_cndmask_b32_e64 v2, v13, v11, s[0:1]
	v_cndmask_b32_e32 v67, v9, v10, vcc
	v_cndmask_b32_e32 v66, v8, v2, vcc
.LBB0_4:                                ;   in Loop: Header=BB0_2 Depth=1
	s_andn2_saveexec_b64 s[0:1], s[30:31]
	s_cbranch_execz .LBB0_6
; %bb.5:                                ;   in Loop: Header=BB0_2 Depth=1
	v_cvt_f32_u32_e32 v2, s28
	s_sub_i32 s30, 0, s28
	v_mov_b32_e32 v67, v1
	v_rcp_iflag_f32_e32 v2, v2
	v_mul_f32_e32 v2, 0x4f7ffffe, v2
	v_cvt_u32_f32_e32 v2, v2
	v_mul_lo_u32 v3, s30, v2
	v_mul_hi_u32 v3, v2, v3
	v_add_u32_e32 v2, v2, v3
	v_mul_hi_u32 v2, v6, v2
	v_mul_lo_u32 v3, v2, s28
	v_add_u32_e32 v8, 1, v2
	v_sub_u32_e32 v3, v6, v3
	v_subrev_u32_e32 v9, s28, v3
	v_cmp_le_u32_e32 vcc, s28, v3
	v_cndmask_b32_e32 v3, v3, v9, vcc
	v_cndmask_b32_e32 v2, v2, v8, vcc
	v_add_u32_e32 v8, 1, v2
	v_cmp_le_u32_e32 vcc, s28, v3
	v_cndmask_b32_e32 v66, v2, v8, vcc
.LBB0_6:                                ;   in Loop: Header=BB0_2 Depth=1
	s_or_b64 exec, exec, s[0:1]
	v_mul_lo_u32 v8, v67, s28
	v_mul_lo_u32 v9, v66, s29
	v_mad_u64_u32 v[2:3], s[0:1], v66, s28, 0
	s_load_dwordx2 s[0:1], s[22:23], 0x0
	s_load_dwordx2 s[28:29], s[6:7], 0x0
	v_add3_u32 v3, v3, v9, v8
	v_sub_co_u32_e32 v2, vcc, v6, v2
	v_subb_co_u32_e32 v3, vcc, v7, v3, vcc
	s_waitcnt lgkmcnt(0)
	v_mul_lo_u32 v6, s0, v3
	v_mul_lo_u32 v7, s1, v2
	v_mad_u64_u32 v[4:5], s[0:1], s0, v2, v[4:5]
	v_mul_lo_u32 v3, s28, v3
	v_mul_lo_u32 v8, s29, v2
	v_mad_u64_u32 v[64:65], s[0:1], s28, v2, v[64:65]
	s_add_u32 s26, s26, 1
	s_addc_u32 s27, s27, 0
	s_add_u32 s6, s6, 8
	v_add3_u32 v65, v8, v65, v3
	s_addc_u32 s7, s7, 0
	v_mov_b32_e32 v2, s14
	s_add_u32 s22, s22, 8
	v_mov_b32_e32 v3, s15
	s_addc_u32 s23, s23, 0
	v_cmp_ge_u64_e32 vcc, s[26:27], v[2:3]
	s_add_u32 s24, s24, 8
	v_add3_u32 v5, v7, v5, v6
	s_addc_u32 s25, s25, 0
	s_cbranch_vccnz .LBB0_9
; %bb.7:                                ;   in Loop: Header=BB0_2 Depth=1
	v_mov_b32_e32 v6, v66
	v_mov_b32_e32 v7, v67
	s_branch .LBB0_2
.LBB0_8:
	v_mov_b32_e32 v65, v5
	v_mov_b32_e32 v67, v7
	;; [unrolled: 1-line block ×4, first 2 shown]
.LBB0_9:
	s_load_dwordx2 s[0:1], s[4:5], 0x28
	s_lshl_b64 s[14:15], s[14:15], 3
	s_add_u32 s4, s18, s14
	s_addc_u32 s5, s19, s15
                                        ; implicit-def: $sgpr18
                                        ; implicit-def: $vgpr84
                                        ; implicit-def: $vgpr87
                                        ; implicit-def: $vgpr86
                                        ; implicit-def: $vgpr85
	s_waitcnt lgkmcnt(0)
	v_cmp_gt_u64_e32 vcc, s[0:1], v[66:67]
	v_cmp_le_u64_e64 s[0:1], s[0:1], v[66:67]
	s_and_saveexec_b64 s[6:7], s[0:1]
	s_xor_b64 s[0:1], exec, s[6:7]
; %bb.10:
	s_mov_b32 s6, 0x1a41a42
	v_mul_hi_u32 v1, v0, s6
	s_mov_b32 s18, 0
                                        ; implicit-def: $vgpr4_vgpr5
	v_mul_u32_u24_e32 v1, 0x9c, v1
	v_sub_u32_e32 v84, v0, v1
	v_add_u32_e32 v87, 0x9c, v84
	v_add_u32_e32 v86, 0x138, v84
	;; [unrolled: 1-line block ×3, first 2 shown]
                                        ; implicit-def: $vgpr0
; %bb.11:
	s_or_saveexec_b64 s[6:7], s[0:1]
	v_mov_b32_e32 v132, s18
                                        ; implicit-def: $vgpr6_vgpr7
                                        ; implicit-def: $vgpr42_vgpr43
                                        ; implicit-def: $vgpr38_vgpr39
                                        ; implicit-def: $vgpr30_vgpr31
                                        ; implicit-def: $vgpr22_vgpr23
                                        ; implicit-def: $vgpr18_vgpr19
                                        ; implicit-def: $vgpr10_vgpr11
                                        ; implicit-def: $vgpr14_vgpr15
                                        ; implicit-def: $vgpr26_vgpr27
                                        ; implicit-def: $vgpr34_vgpr35
                                        ; implicit-def: $vgpr46_vgpr47
                                        ; implicit-def: $vgpr50_vgpr51
                                        ; implicit-def: $vgpr2_vgpr3
	s_xor_b64 exec, exec, s[6:7]
	s_cbranch_execz .LBB0_13
; %bb.12:
	s_add_u32 s0, s16, s14
	s_mov_b32 s14, 0x1a41a42
	s_addc_u32 s1, s17, s15
	v_mul_hi_u32 v1, v0, s14
	s_load_dwordx2 s[0:1], s[0:1], 0x0
	v_mul_u32_u24_e32 v1, 0x9c, v1
	v_sub_u32_e32 v84, v0, v1
	s_waitcnt lgkmcnt(0)
	v_mul_lo_u32 v8, s1, v66
	v_mad_u64_u32 v[0:1], s[14:15], s20, v84, 0
	v_mul_lo_u32 v9, s0, v67
	v_mad_u64_u32 v[2:3], s[0:1], s0, v66, 0
	v_add_u32_e32 v87, 0x9c, v84
	v_add_u32_e32 v86, 0x138, v84
	v_mad_u64_u32 v[6:7], s[0:1], s21, v84, v[1:2]
	v_add3_u32 v3, v3, v9, v8
	v_lshlrev_b64 v[2:3], 4, v[2:3]
	v_mov_b32_e32 v1, v6
	v_mov_b32_e32 v6, s9
	v_add_co_u32_e64 v7, s[0:1], s8, v2
	v_addc_co_u32_e64 v6, s[0:1], v6, v3, s[0:1]
	v_lshlrev_b64 v[2:3], 4, v[4:5]
	v_mad_u64_u32 v[4:5], s[0:1], s20, v87, 0
	v_add_co_u32_e64 v8, s[0:1], v7, v2
	v_mov_b32_e32 v2, v5
	v_addc_co_u32_e64 v9, s[0:1], v6, v3, s[0:1]
	v_mad_u64_u32 v[2:3], s[0:1], s21, v87, v[2:3]
	v_mad_u64_u32 v[6:7], s[0:1], s20, v86, 0
	v_lshlrev_b64 v[0:1], 4, v[0:1]
	v_mov_b32_e32 v5, v2
	v_add_co_u32_e64 v52, s[0:1], v8, v0
	v_mov_b32_e32 v2, v7
	v_addc_co_u32_e64 v53, s[0:1], v9, v1, s[0:1]
	v_mad_u64_u32 v[2:3], s[0:1], s21, v86, v[2:3]
	v_add_u32_e32 v85, 0x1d4, v84
	v_lshlrev_b64 v[0:1], 4, v[4:5]
	v_mad_u64_u32 v[3:4], s[0:1], s20, v85, 0
	v_add_co_u32_e64 v54, s[0:1], v8, v0
	v_mov_b32_e32 v7, v2
	v_mov_b32_e32 v2, v4
	v_addc_co_u32_e64 v55, s[0:1], v9, v1, s[0:1]
	v_lshlrev_b64 v[0:1], 4, v[6:7]
	v_mad_u64_u32 v[4:5], s[0:1], s21, v85, v[2:3]
	v_add_u32_e32 v7, 0x270, v84
	v_mad_u64_u32 v[5:6], s[0:1], s20, v7, 0
	v_add_co_u32_e64 v56, s[0:1], v8, v0
	v_mov_b32_e32 v2, v6
	v_addc_co_u32_e64 v57, s[0:1], v9, v1, s[0:1]
	v_lshlrev_b64 v[0:1], 4, v[3:4]
	v_mad_u64_u32 v[2:3], s[0:1], s21, v7, v[2:3]
	v_add_u32_e32 v7, 0x30c, v84
	v_mad_u64_u32 v[3:4], s[0:1], s20, v7, 0
	v_add_co_u32_e64 v58, s[0:1], v8, v0
	v_mov_b32_e32 v6, v2
	v_mov_b32_e32 v2, v4
	v_addc_co_u32_e64 v59, s[0:1], v9, v1, s[0:1]
	v_lshlrev_b64 v[0:1], 4, v[5:6]
	v_mad_u64_u32 v[4:5], s[0:1], s21, v7, v[2:3]
	v_add_u32_e32 v7, 0x3a8, v84
	v_mad_u64_u32 v[5:6], s[0:1], s20, v7, 0
	v_add_co_u32_e64 v60, s[0:1], v8, v0
	v_mov_b32_e32 v2, v6
	v_addc_co_u32_e64 v61, s[0:1], v9, v1, s[0:1]
	v_lshlrev_b64 v[0:1], 4, v[3:4]
	v_mad_u64_u32 v[2:3], s[0:1], s21, v7, v[2:3]
	v_add_u32_e32 v7, 0x444, v84
	;; [unrolled: 15-line block ×4, first 2 shown]
	v_mad_u64_u32 v[3:4], s[0:1], s20, v7, 0
	v_add_co_u32_e64 v74, s[0:1], v8, v0
	v_mov_b32_e32 v6, v2
	v_mov_b32_e32 v2, v4
	v_addc_co_u32_e64 v75, s[0:1], v9, v1, s[0:1]
	v_lshlrev_b64 v[0:1], 4, v[5:6]
	v_mad_u64_u32 v[4:5], s[0:1], s21, v7, v[2:3]
	v_add_u32_e32 v7, 0x750, v84
	v_mad_u64_u32 v[5:6], s[0:1], s20, v7, 0
	v_add_co_u32_e64 v76, s[0:1], v8, v0
	v_mov_b32_e32 v2, v6
	v_addc_co_u32_e64 v77, s[0:1], v9, v1, s[0:1]
	v_lshlrev_b64 v[0:1], 4, v[3:4]
	v_mad_u64_u32 v[2:3], s[0:1], s21, v7, v[2:3]
	v_add_co_u32_e64 v78, s[0:1], v8, v0
	v_mov_b32_e32 v6, v2
	v_addc_co_u32_e64 v79, s[0:1], v9, v1, s[0:1]
	v_lshlrev_b64 v[0:1], 4, v[5:6]
	v_mov_b32_e32 v132, v84
	v_add_co_u32_e64 v80, s[0:1], v8, v0
	v_addc_co_u32_e64 v81, s[0:1], v9, v1, s[0:1]
	global_load_dwordx4 v[0:3], v[52:53], off
	global_load_dwordx4 v[4:7], v[54:55], off
	;; [unrolled: 1-line block ×13, first 2 shown]
.LBB0_13:
	s_or_b64 exec, exec, s[6:7]
	s_waitcnt vmcnt(11)
	v_add_f64 v[60:61], v[4:5], v[0:1]
	v_add_f64 v[62:63], v[6:7], v[2:3]
	s_waitcnt vmcnt(4)
	v_add_f64 v[68:69], v[36:37], -v[24:25]
	v_add_f64 v[74:75], v[38:39], -v[26:27]
	v_add_f64 v[54:55], v[28:29], v[32:33]
	v_add_f64 v[56:57], v[28:29], -v[32:33]
	s_waitcnt vmcnt(0)
	v_add_f64 v[92:93], v[4:5], v[8:9]
	v_add_f64 v[94:95], v[6:7], v[10:11]
	v_add_f64 v[76:77], v[40:41], v[60:61]
	v_add_f64 v[78:79], v[42:43], v[62:63]
	v_add_f64 v[60:61], v[36:37], v[24:25]
	v_add_f64 v[62:63], v[38:39], v[26:27]
	v_add_f64 v[70:71], v[20:21], v[44:45]
	s_mov_b32 s26, 0x42a4c3d2
	s_mov_b32 s30, 0x66966769
	;; [unrolled: 1-line block ×3, first 2 shown]
	v_add_f64 v[88:89], v[48:49], v[76:77]
	v_add_f64 v[90:91], v[50:51], v[78:79]
	v_add_f64 v[76:77], v[44:45], -v[20:21]
	v_add_f64 v[78:79], v[16:17], v[48:49]
	v_add_f64 v[48:49], v[48:49], -v[16:17]
	s_mov_b32 s22, 0x24c2f84
	s_mov_b32 s28, 0x4bc48dbf
	;; [unrolled: 1-line block ×3, first 2 shown]
	v_add_f64 v[88:89], v[44:45], v[88:89]
	v_add_f64 v[90:91], v[46:47], v[90:91]
	s_mov_b32 s20, 0x4267c47c
	s_mov_b32 s27, 0xbfea55e2
	;; [unrolled: 1-line block ×6, first 2 shown]
	v_add_f64 v[36:37], v[36:37], v[88:89]
	v_add_f64 v[38:39], v[38:39], v[90:91]
	v_add_f64 v[88:89], v[4:5], -v[8:9]
	v_add_f64 v[4:5], v[6:7], -v[10:11]
	v_add_f64 v[52:53], v[30:31], v[34:35]
	v_add_f64 v[58:59], v[30:31], -v[34:35]
	v_add_f64 v[72:73], v[22:23], v[46:47]
	;; [unrolled: 2-line block ×3, first 2 shown]
	v_add_f64 v[28:29], v[30:31], v[38:39]
	v_add_f64 v[80:81], v[18:19], v[50:51]
	v_add_f64 v[50:51], v[50:51], -v[18:19]
	v_mul_f64 v[30:31], v[4:5], s[22:23]
	s_mov_b32 s16, 0xe00740e9
	s_mov_b32 s8, 0x1ea71119
	;; [unrolled: 1-line block ×3, first 2 shown]
	v_add_f64 v[6:7], v[32:33], v[6:7]
	v_add_f64 v[28:29], v[34:35], v[28:29]
	s_mov_b32 s6, 0xb2365da1
	s_mov_b32 s18, 0xd0032e0c
	;; [unrolled: 1-line block ×6, first 2 shown]
	v_add_f64 v[6:7], v[24:25], v[6:7]
	v_add_f64 v[24:25], v[26:27], v[28:29]
	v_mul_f64 v[26:27], v[4:5], s[30:31]
	v_mul_f64 v[28:29], v[4:5], s[14:15]
	s_mov_b32 s7, 0xbfd6b1d8
	s_mov_b32 s19, 0xbfe7f3cc
	;; [unrolled: 1-line block ×3, first 2 shown]
	v_add_f64 v[44:45], v[40:41], v[12:13]
	v_add_f64 v[6:7], v[20:21], v[6:7]
	;; [unrolled: 1-line block ×3, first 2 shown]
	v_mul_f64 v[22:23], v[4:5], s[20:21]
	v_mul_f64 v[24:25], v[4:5], s[26:27]
	v_add_f64 v[46:47], v[42:43], v[14:15]
	v_add_f64 v[40:41], v[40:41], -v[12:13]
	v_add_f64 v[42:43], v[42:43], -v[14:15]
	v_mul_f64 v[36:37], v[88:89], s[30:31]
	v_add_f64 v[6:7], v[16:17], v[6:7]
	v_add_f64 v[16:17], v[18:19], v[20:21]
	v_mul_f64 v[18:19], v[4:5], s[28:29]
	v_mul_f64 v[20:21], v[88:89], s[20:21]
	v_fma_f64 v[32:33], v[92:93], s[16:17], v[22:23]
	v_fma_f64 v[22:23], v[92:93], s[16:17], -v[22:23]
	v_fma_f64 v[34:35], v[92:93], s[8:9], v[24:25]
	v_fma_f64 v[24:25], v[92:93], s[8:9], -v[24:25]
	v_add_f64 v[4:5], v[12:13], v[6:7]
	v_add_f64 v[6:7], v[14:15], v[16:17]
	v_fma_f64 v[12:13], v[92:93], s[0:1], v[26:27]
	v_fma_f64 v[14:15], v[92:93], s[0:1], -v[26:27]
	v_fma_f64 v[16:17], v[92:93], s[6:7], v[28:29]
	v_fma_f64 v[26:27], v[92:93], s[6:7], -v[28:29]
	;; [unrolled: 2-line block ×3, first 2 shown]
	v_add_f64 v[4:5], v[8:9], v[4:5]
	v_add_f64 v[6:7], v[10:11], v[6:7]
	v_mul_f64 v[10:11], v[88:89], s[26:27]
	v_fma_f64 v[8:9], v[92:93], s[24:25], v[18:19]
	v_fma_f64 v[18:19], v[92:93], s[24:25], -v[18:19]
	v_mul_f64 v[90:91], v[88:89], s[14:15]
	v_mul_f64 v[92:93], v[88:89], s[22:23]
	;; [unrolled: 1-line block ×3, first 2 shown]
	v_fma_f64 v[38:39], v[94:95], s[16:17], -v[20:21]
	v_fma_f64 v[20:21], v[94:95], s[16:17], v[20:21]
	v_fma_f64 v[96:97], v[94:95], s[8:9], -v[10:11]
	v_fma_f64 v[10:11], v[94:95], s[8:9], v[10:11]
	;; [unrolled: 2-line block ×6, first 2 shown]
	v_add_f64 v[94:95], v[96:97], v[2:3]
	v_add_f64 v[96:97], v[10:11], v[2:3]
	;; [unrolled: 1-line block ×3, first 2 shown]
	v_mul_f64 v[10:11], v[42:43], s[26:27]
	v_mul_f64 v[12:13], v[40:41], s[26:27]
	v_add_f64 v[32:33], v[32:33], v[0:1]
	v_add_f64 v[38:39], v[38:39], v[2:3]
	;; [unrolled: 1-line block ×5, first 2 shown]
	v_mul_f64 v[26:27], v[50:51], s[30:31]
	v_fma_f64 v[14:15], v[44:45], s[8:9], v[10:11]
	v_fma_f64 v[16:17], v[46:47], s[8:9], -v[12:13]
	v_mul_f64 v[114:115], v[48:49], s[30:31]
	v_add_f64 v[116:117], v[28:29], v[0:1]
	v_add_f64 v[118:119], v[30:31], v[0:1]
	;; [unrolled: 1-line block ×4, first 2 shown]
	v_fma_f64 v[28:29], v[78:79], s[0:1], v[26:27]
	v_add_f64 v[14:15], v[14:15], v[32:33]
	v_add_f64 v[16:17], v[16:17], v[38:39]
	v_fma_f64 v[30:31], v[80:81], s[0:1], -v[114:115]
	v_mul_f64 v[32:33], v[82:83], s[14:15]
	v_mul_f64 v[38:39], v[76:77], s[14:15]
	v_add_f64 v[120:121], v[8:9], v[0:1]
	v_fma_f64 v[8:9], v[44:45], s[8:9], -v[10:11]
	v_fma_f64 v[10:11], v[46:47], s[8:9], v[12:13]
	v_add_f64 v[12:13], v[28:29], v[14:15]
	v_mul_f64 v[122:123], v[68:69], s[22:23]
	v_add_f64 v[14:15], v[30:31], v[16:17]
	v_fma_f64 v[16:17], v[70:71], s[6:7], v[32:33]
	v_mul_f64 v[30:31], v[74:75], s[22:23]
	v_fma_f64 v[28:29], v[72:73], s[6:7], -v[38:39]
	v_add_f64 v[8:9], v[8:9], v[22:23]
	v_add_f64 v[10:11], v[10:11], v[20:21]
	v_fma_f64 v[20:21], v[78:79], s[0:1], -v[26:27]
	v_fma_f64 v[22:23], v[80:81], s[0:1], v[114:115]
	v_add_f64 v[34:35], v[34:35], v[0:1]
	v_add_f64 v[12:13], v[16:17], v[12:13]
	v_fma_f64 v[16:17], v[60:61], s[18:19], v[30:31]
	v_add_f64 v[24:25], v[24:25], v[0:1]
	v_add_f64 v[98:99], v[98:99], v[2:3]
	;; [unrolled: 1-line block ×9, first 2 shown]
	v_fma_f64 v[26:27], v[62:63], s[18:19], -v[122:123]
	v_add_f64 v[114:115], v[18:19], v[0:1]
	v_add_f64 v[88:89], v[88:89], v[2:3]
	v_add_f64 v[0:1], v[20:21], v[8:9]
	v_add_f64 v[2:3], v[22:23], v[10:11]
	v_fma_f64 v[8:9], v[70:71], s[6:7], -v[32:33]
	v_fma_f64 v[10:11], v[72:73], s[6:7], v[38:39]
	v_add_f64 v[12:13], v[16:17], v[12:13]
	v_mul_f64 v[16:17], v[58:59], s[28:29]
	v_mul_f64 v[20:21], v[42:43], s[14:15]
	;; [unrolled: 1-line block ×3, first 2 shown]
	v_add_f64 v[14:15], v[26:27], v[14:15]
	v_mul_f64 v[18:19], v[56:57], s[28:29]
	v_add_f64 v[0:1], v[8:9], v[0:1]
	v_add_f64 v[2:3], v[10:11], v[2:3]
	v_fma_f64 v[8:9], v[60:61], s[18:19], -v[30:31]
	v_fma_f64 v[10:11], v[62:63], s[18:19], v[122:123]
	v_fma_f64 v[26:27], v[54:55], s[24:25], v[16:17]
	;; [unrolled: 1-line block ×3, first 2 shown]
	v_fma_f64 v[32:33], v[46:47], s[6:7], -v[22:23]
	v_mul_f64 v[38:39], v[50:51], s[28:29]
	v_mul_f64 v[122:123], v[48:49], s[28:29]
	s_mov_b32 s37, 0x3fe5384d
	s_mov_b32 s36, s22
	v_fma_f64 v[28:29], v[52:53], s[24:25], -v[18:19]
	v_add_f64 v[0:1], v[8:9], v[0:1]
	v_add_f64 v[2:3], v[10:11], v[2:3]
	v_fma_f64 v[16:17], v[54:55], s[24:25], -v[16:17]
	v_fma_f64 v[18:19], v[52:53], s[24:25], v[18:19]
	v_add_f64 v[30:31], v[30:31], v[34:35]
	v_add_f64 v[32:33], v[32:33], v[94:95]
	v_fma_f64 v[34:35], v[78:79], s[24:25], v[38:39]
	v_fma_f64 v[94:95], v[80:81], s[24:25], -v[122:123]
	v_mul_f64 v[124:125], v[82:83], s[36:37]
	v_add_f64 v[8:9], v[26:27], v[12:13]
	v_mul_f64 v[12:13], v[76:77], s[36:37]
	s_mov_b32 s35, 0x3fefc445
	s_mov_b32 s34, s30
	v_add_f64 v[10:11], v[28:29], v[14:15]
	v_add_f64 v[0:1], v[16:17], v[0:1]
	;; [unrolled: 1-line block ×5, first 2 shown]
	v_fma_f64 v[18:19], v[70:71], s[18:19], v[124:125]
	v_fma_f64 v[20:21], v[44:45], s[6:7], -v[20:21]
	v_fma_f64 v[22:23], v[46:47], s[6:7], v[22:23]
	v_fma_f64 v[26:27], v[72:73], s[18:19], -v[12:13]
	v_mul_f64 v[28:29], v[74:75], s[34:35]
	v_mul_f64 v[30:31], v[68:69], s[34:35]
	s_mov_b32 s21, 0x3fddbe06
	v_mul_f64 v[34:35], v[58:59], s[20:21]
	v_add_f64 v[14:15], v[18:19], v[14:15]
	v_add_f64 v[18:19], v[20:21], v[24:25]
	;; [unrolled: 1-line block ×3, first 2 shown]
	v_fma_f64 v[22:23], v[78:79], s[24:25], -v[38:39]
	v_fma_f64 v[24:25], v[80:81], s[24:25], v[122:123]
	v_add_f64 v[16:17], v[26:27], v[16:17]
	v_fma_f64 v[26:27], v[60:61], s[0:1], v[28:29]
	v_fma_f64 v[32:33], v[62:63], s[0:1], -v[30:31]
	v_mul_f64 v[38:39], v[56:57], s[20:21]
	v_fma_f64 v[12:13], v[72:73], s[18:19], v[12:13]
	s_mov_b32 s39, 0x3fedeba7
	v_add_f64 v[18:19], v[22:23], v[18:19]
	v_add_f64 v[20:21], v[24:25], v[20:21]
	v_fma_f64 v[22:23], v[70:71], s[18:19], -v[124:125]
	v_add_f64 v[14:15], v[26:27], v[14:15]
	v_mul_f64 v[24:25], v[42:43], s[28:29]
	v_mul_f64 v[26:27], v[40:41], s[28:29]
	s_mov_b32 s38, s14
	v_add_f64 v[16:17], v[32:33], v[16:17]
	v_fma_f64 v[32:33], v[54:55], s[16:17], v[34:35]
	v_fma_f64 v[94:95], v[52:53], s[16:17], -v[38:39]
	v_add_f64 v[18:19], v[22:23], v[18:19]
	v_add_f64 v[20:21], v[12:13], v[20:21]
	v_fma_f64 v[22:23], v[60:61], s[0:1], -v[28:29]
	v_fma_f64 v[28:29], v[62:63], s[0:1], v[30:31]
	v_fma_f64 v[30:31], v[44:45], s[24:25], v[24:25]
	v_fma_f64 v[96:97], v[46:47], s[24:25], -v[26:27]
	v_mul_f64 v[122:123], v[50:51], s[38:39]
	v_mul_f64 v[124:125], v[48:49], s[38:39]
	v_add_f64 v[12:13], v[32:33], v[14:15]
	v_add_f64 v[14:15], v[94:95], v[16:17]
	;; [unrolled: 1-line block ×6, first 2 shown]
	v_fma_f64 v[28:29], v[78:79], s[6:7], v[122:123]
	v_fma_f64 v[30:31], v[80:81], s[6:7], -v[124:125]
	v_mul_f64 v[32:33], v[82:83], s[20:21]
	v_mul_f64 v[94:95], v[76:77], s[20:21]
	v_fma_f64 v[24:25], v[44:45], s[24:25], -v[24:25]
	v_fma_f64 v[26:27], v[46:47], s[24:25], v[26:27]
	v_fma_f64 v[34:35], v[54:55], s[16:17], -v[34:35]
	v_fma_f64 v[38:39], v[52:53], s[16:17], v[38:39]
	v_add_f64 v[20:21], v[28:29], v[20:21]
	v_add_f64 v[22:23], v[30:31], v[22:23]
	v_fma_f64 v[28:29], v[70:71], s[16:17], v[32:33]
	v_fma_f64 v[30:31], v[72:73], s[16:17], -v[94:95]
	v_mul_f64 v[96:97], v[74:75], s[26:27]
	v_mul_f64 v[98:99], v[68:69], s[26:27]
	v_add_f64 v[24:25], v[24:25], v[108:109]
	v_add_f64 v[26:27], v[26:27], v[36:37]
	v_fma_f64 v[36:37], v[78:79], s[6:7], -v[122:123]
	v_fma_f64 v[106:107], v[80:81], s[6:7], v[124:125]
	v_add_f64 v[20:21], v[28:29], v[20:21]
	v_add_f64 v[22:23], v[30:31], v[22:23]
	v_fma_f64 v[28:29], v[60:61], s[8:9], v[96:97]
	v_fma_f64 v[30:31], v[62:63], s[8:9], -v[98:99]
	v_add_f64 v[16:17], v[34:35], v[16:17]
	v_add_f64 v[18:19], v[38:39], v[18:19]
	;; [unrolled: 1-line block ×4, first 2 shown]
	v_fma_f64 v[32:33], v[70:71], s[16:17], -v[32:33]
	v_fma_f64 v[34:35], v[72:73], s[16:17], v[94:95]
	v_mul_f64 v[36:37], v[42:43], s[36:37]
	v_mul_f64 v[38:39], v[40:41], s[36:37]
	v_add_f64 v[20:21], v[28:29], v[20:21]
	v_add_f64 v[22:23], v[30:31], v[22:23]
	v_mul_f64 v[28:29], v[58:59], s[22:23]
	v_mul_f64 v[30:31], v[56:57], s[22:23]
	v_add_f64 v[24:25], v[32:33], v[24:25]
	v_add_f64 v[26:27], v[34:35], v[26:27]
	v_fma_f64 v[32:33], v[60:61], s[8:9], -v[96:97]
	v_fma_f64 v[34:35], v[62:63], s[8:9], v[98:99]
	v_fma_f64 v[98:99], v[44:45], s[18:19], v[36:37]
	v_fma_f64 v[106:107], v[46:47], s[18:19], -v[38:39]
	v_mul_f64 v[108:109], v[50:51], s[20:21]
	v_mul_f64 v[122:123], v[48:49], s[20:21]
	v_fma_f64 v[94:95], v[54:55], s[18:19], v[28:29]
	v_fma_f64 v[96:97], v[52:53], s[18:19], -v[30:31]
	v_add_f64 v[24:25], v[32:33], v[24:25]
	v_add_f64 v[26:27], v[34:35], v[26:27]
	v_fma_f64 v[28:29], v[54:55], s[18:19], -v[28:29]
	v_fma_f64 v[30:31], v[52:53], s[18:19], v[30:31]
	v_add_f64 v[32:33], v[98:99], v[110:111]
	v_add_f64 v[34:35], v[106:107], v[100:101]
	v_fma_f64 v[98:99], v[78:79], s[16:17], v[108:109]
	v_fma_f64 v[100:101], v[80:81], s[16:17], -v[122:123]
	v_mul_f64 v[106:107], v[82:83], s[30:31]
	v_mul_f64 v[110:111], v[76:77], s[30:31]
	s_mov_b32 s31, 0x3fcea1e5
	s_mov_b32 s30, s28
	v_add_f64 v[20:21], v[94:95], v[20:21]
	v_add_f64 v[22:23], v[96:97], v[22:23]
	;; [unrolled: 1-line block ×6, first 2 shown]
	v_fma_f64 v[32:33], v[70:71], s[0:1], v[106:107]
	v_fma_f64 v[34:35], v[72:73], s[0:1], -v[110:111]
	v_fma_f64 v[36:37], v[44:45], s[18:19], -v[36:37]
	v_fma_f64 v[38:39], v[46:47], s[18:19], v[38:39]
	v_mul_f64 v[94:95], v[74:75], s[30:31]
	v_mul_f64 v[96:97], v[68:69], s[30:31]
	s_mov_b32 s29, 0x3fea55e2
	s_mov_b32 s28, s26
	v_add_f64 v[28:29], v[32:33], v[28:29]
	v_add_f64 v[30:31], v[34:35], v[30:31]
	;; [unrolled: 1-line block ×4, first 2 shown]
	v_fma_f64 v[36:37], v[78:79], s[16:17], -v[108:109]
	v_fma_f64 v[38:39], v[80:81], s[16:17], v[122:123]
	v_fma_f64 v[90:91], v[60:61], s[24:25], v[94:95]
	v_fma_f64 v[98:99], v[62:63], s[24:25], -v[96:97]
	v_mul_f64 v[100:101], v[58:59], s[28:29]
	v_mul_f64 v[108:109], v[56:57], s[28:29]
	;; [unrolled: 1-line block ×4, first 2 shown]
	v_add_f64 v[32:33], v[36:37], v[32:33]
	v_add_f64 v[34:35], v[38:39], v[34:35]
	v_fma_f64 v[36:37], v[70:71], s[0:1], -v[106:107]
	v_fma_f64 v[38:39], v[72:73], s[0:1], v[110:111]
	v_add_f64 v[28:29], v[90:91], v[28:29]
	v_add_f64 v[30:31], v[98:99], v[30:31]
	v_fma_f64 v[90:91], v[54:55], s[8:9], v[100:101]
	v_mul_f64 v[98:99], v[42:43], s[34:35]
	v_mul_f64 v[106:107], v[40:41], s[34:35]
	v_fma_f64 v[110:111], v[52:53], s[8:9], -v[108:109]
	v_add_f64 v[32:33], v[36:37], v[32:33]
	v_add_f64 v[34:35], v[38:39], v[34:35]
	v_fma_f64 v[36:37], v[60:61], s[24:25], -v[94:95]
	v_fma_f64 v[38:39], v[62:63], s[24:25], v[96:97]
	v_add_f64 v[28:29], v[90:91], v[28:29]
	v_fma_f64 v[90:91], v[44:45], s[0:1], v[98:99]
	v_fma_f64 v[94:95], v[46:47], s[0:1], -v[106:107]
	v_mul_f64 v[96:97], v[50:51], s[26:27]
	v_add_f64 v[30:31], v[110:111], v[30:31]
	v_mul_f64 v[110:111], v[76:77], s[30:31]
	v_add_f64 v[32:33], v[36:37], v[32:33]
	v_add_f64 v[34:35], v[38:39], v[34:35]
	v_fma_f64 v[36:37], v[54:55], s[8:9], -v[100:101]
	v_add_f64 v[38:39], v[90:91], v[116:117]
	v_add_f64 v[90:91], v[94:95], v[102:103]
	v_fma_f64 v[94:95], v[78:79], s[8:9], v[96:97]
	v_mul_f64 v[102:103], v[82:83], s[30:31]
	v_fma_f64 v[100:101], v[80:81], s[8:9], -v[112:113]
	v_fma_f64 v[96:97], v[78:79], s[8:9], -v[96:97]
	v_mul_f64 v[42:43], v[42:43], s[20:21]
	v_add_f64 v[32:33], v[36:37], v[32:33]
	v_fma_f64 v[36:37], v[44:45], s[0:1], -v[98:99]
	v_fma_f64 v[98:99], v[46:47], s[0:1], v[106:107]
	v_add_f64 v[38:39], v[94:95], v[38:39]
	v_fma_f64 v[94:95], v[70:71], s[24:25], v[102:103]
	v_mul_f64 v[106:107], v[74:75], s[20:21]
	v_mul_f64 v[40:41], v[40:41], s[20:21]
	;; [unrolled: 1-line block ×3, first 2 shown]
	v_add_f64 v[90:91], v[100:101], v[90:91]
	v_add_f64 v[36:37], v[36:37], v[118:119]
	;; [unrolled: 1-line block ×3, first 2 shown]
	v_fma_f64 v[98:99], v[80:81], s[8:9], v[112:113]
	v_add_f64 v[38:39], v[94:95], v[38:39]
	v_fma_f64 v[94:95], v[60:61], s[16:17], v[106:107]
	v_mul_f64 v[112:113], v[58:59], s[14:15]
	v_fma_f64 v[100:101], v[72:73], s[24:25], -v[110:111]
	v_mul_f64 v[116:117], v[68:69], s[20:21]
	v_add_f64 v[36:37], v[96:97], v[36:37]
	v_fma_f64 v[96:97], v[70:71], s[24:25], -v[102:103]
	v_add_f64 v[92:93], v[98:99], v[92:93]
	v_fma_f64 v[98:99], v[72:73], s[24:25], v[110:111]
	v_add_f64 v[38:39], v[94:95], v[38:39]
	v_fma_f64 v[94:95], v[54:55], s[6:7], v[112:113]
	v_mul_f64 v[82:83], v[82:83], s[28:29]
	v_mul_f64 v[76:77], v[76:77], s[28:29]
	v_add_f64 v[90:91], v[100:101], v[90:91]
	v_add_f64 v[96:97], v[96:97], v[36:37]
	v_fma_f64 v[100:101], v[62:63], s[16:17], -v[116:117]
	v_add_f64 v[92:93], v[98:99], v[92:93]
	v_fma_f64 v[98:99], v[60:61], s[16:17], -v[106:107]
	v_add_f64 v[36:37], v[94:95], v[38:39]
	v_fma_f64 v[94:95], v[44:45], s[16:17], v[42:43]
	v_fma_f64 v[106:107], v[46:47], s[16:17], -v[40:41]
	v_fma_f64 v[42:43], v[44:45], s[16:17], -v[42:43]
	v_fma_f64 v[40:41], v[46:47], s[16:17], v[40:41]
	v_mul_f64 v[74:75], v[74:75], s[14:15]
	v_mul_f64 v[68:69], v[68:69], s[14:15]
	v_add_f64 v[96:97], v[98:99], v[96:97]
	v_fma_f64 v[98:99], v[80:81], s[18:19], -v[48:49]
	v_add_f64 v[44:45], v[94:95], v[120:121]
	v_add_f64 v[46:47], v[106:107], v[104:105]
	v_fma_f64 v[94:95], v[78:79], s[18:19], v[50:51]
	v_add_f64 v[42:43], v[42:43], v[114:115]
	v_add_f64 v[40:41], v[40:41], v[88:89]
	v_fma_f64 v[50:51], v[78:79], s[18:19], -v[50:51]
	v_fma_f64 v[48:49], v[80:81], s[18:19], v[48:49]
	v_fma_f64 v[78:79], v[70:71], s[8:9], v[82:83]
	v_fma_f64 v[80:81], v[72:73], s[8:9], -v[76:77]
	v_add_f64 v[46:47], v[98:99], v[46:47]
	v_add_f64 v[44:45], v[94:95], v[44:45]
	;; [unrolled: 1-line block ×3, first 2 shown]
	v_mul_f64 v[100:101], v[56:57], s[14:15]
	v_add_f64 v[42:43], v[50:51], v[42:43]
	v_add_f64 v[40:41], v[48:49], v[40:41]
	v_fma_f64 v[50:51], v[72:73], s[8:9], v[76:77]
	v_fma_f64 v[48:49], v[70:71], s[8:9], -v[82:83]
	v_add_f64 v[46:47], v[80:81], v[46:47]
	v_add_f64 v[44:45], v[78:79], v[44:45]
	v_fma_f64 v[70:71], v[60:61], s[6:7], v[74:75]
	v_fma_f64 v[72:73], v[62:63], s[6:7], -v[68:69]
	v_mul_f64 v[58:59], v[58:59], s[34:35]
	v_mul_f64 v[56:57], v[56:57], s[34:35]
	v_add_f64 v[40:41], v[50:51], v[40:41]
	v_fma_f64 v[50:51], v[62:63], s[6:7], v[68:69]
	v_fma_f64 v[102:103], v[62:63], s[16:17], v[116:117]
	v_add_f64 v[42:43], v[48:49], v[42:43]
	v_fma_f64 v[48:49], v[60:61], s[6:7], -v[74:75]
	v_fma_f64 v[38:39], v[52:53], s[6:7], -v[100:101]
	v_fma_f64 v[108:109], v[52:53], s[8:9], v[108:109]
	v_fma_f64 v[62:63], v[52:53], s[6:7], v[100:101]
	v_add_f64 v[44:45], v[70:71], v[44:45]
	v_add_f64 v[46:47], v[72:73], v[46:47]
	v_fma_f64 v[68:69], v[54:55], s[0:1], v[58:59]
	v_fma_f64 v[70:71], v[52:53], s[0:1], -v[56:57]
	v_add_f64 v[50:51], v[50:51], v[40:41]
	v_fma_f64 v[52:53], v[52:53], s[0:1], v[56:57]
	v_add_f64 v[92:93], v[102:103], v[92:93]
	v_fma_f64 v[60:61], v[54:55], s[6:7], -v[112:113]
	v_add_f64 v[48:49], v[48:49], v[42:43]
	v_fma_f64 v[54:55], v[54:55], s[0:1], -v[58:59]
	v_add_f64 v[38:39], v[38:39], v[90:91]
	s_movk_i32 s0, 0xd0
	v_add_f64 v[44:45], v[68:69], v[44:45]
	v_add_f64 v[46:47], v[70:71], v[46:47]
	;; [unrolled: 1-line block ×3, first 2 shown]
	v_mad_u32_u24 v52, v84, s0, 0
	s_movk_i32 s0, 0xff40
	v_add_f64 v[34:35], v[108:109], v[34:35]
	v_add_f64 v[40:41], v[60:61], v[96:97]
	;; [unrolled: 1-line block ×4, first 2 shown]
	v_mad_i32_i24 v68, v84, s0, v52
	v_lshl_add_u32 v69, v87, 4, 0
	s_load_dwordx2 s[4:5], s[4:5], 0x0
	ds_write_b128 v52, v[4:7]
	ds_write_b128 v52, v[8:11] offset:16
	ds_write_b128 v52, v[12:15] offset:32
	;; [unrolled: 1-line block ×12, first 2 shown]
	s_waitcnt lgkmcnt(0)
	s_barrier
	ds_read_b128 v[8:11], v68
	ds_read_b128 v[20:23], v68 offset:8112
	ds_read_b128 v[36:39], v68 offset:16224
	;; [unrolled: 1-line block ×3, first 2 shown]
	v_lshl_add_u32 v70, v86, 4, 0
	ds_read_b128 v[12:15], v69
	ds_read_b128 v[4:7], v70
	ds_read_b128 v[40:43], v68 offset:10608
	ds_read_b128 v[24:27], v68 offset:13104
	;; [unrolled: 1-line block ×6, first 2 shown]
	v_cmp_gt_u32_e64 s[0:1], 39, v84
	v_lshl_add_u32 v71, v85, 4, 0
                                        ; implicit-def: $vgpr54_vgpr55
                                        ; implicit-def: $vgpr58_vgpr59
                                        ; implicit-def: $vgpr62_vgpr63
	s_and_saveexec_b64 s[6:7], s[0:1]
	s_cbranch_execz .LBB0_15
; %bb.14:
	ds_read_b128 v[52:55], v68 offset:15600
	ds_read_b128 v[56:59], v68 offset:23712
	ds_read_b128 v[0:3], v71
	ds_read_b128 v[60:63], v68 offset:31824
.LBB0_15:
	s_or_b64 exec, exec, s[6:7]
	s_movk_i32 s6, 0x4f
	v_mul_lo_u16_sdwa v72, v84, s6 dst_sel:DWORD dst_unused:UNUSED_PAD src0_sel:BYTE_0 src1_sel:DWORD
	v_lshrrev_b16_e32 v72, 10, v72
	v_mul_lo_u16_e32 v73, 13, v72
	v_sub_u16_e32 v73, v84, v73
	v_mov_b32_e32 v74, 3
	v_mul_u32_u24_sdwa v74, v73, v74 dst_sel:DWORD dst_unused:UNUSED_PAD src0_sel:BYTE_0 src1_sel:DWORD
	s_movk_i32 s6, 0x4ec5
	v_lshlrev_b32_e32 v76, 4, v74
	v_mul_u32_u24_sdwa v74, v87, s6 dst_sel:DWORD dst_unused:UNUSED_PAD src0_sel:WORD_0 src1_sel:DWORD
	v_lshrrev_b32_e32 v74, 18, v74
	v_mul_lo_u16_e32 v75, 13, v74
	v_sub_u16_e32 v75, v87, v75
	v_mul_u32_u24_e32 v77, 3, v75
	global_load_dwordx4 v[78:81], v76, s[12:13] offset:16
	global_load_dwordx4 v[88:91], v76, s[12:13]
	v_lshlrev_b32_e32 v77, 4, v77
	global_load_dwordx4 v[92:95], v77, s[12:13] offset:32
	global_load_dwordx4 v[96:99], v77, s[12:13] offset:16
	;; [unrolled: 1-line block ×3, first 2 shown]
	global_load_dwordx4 v[104:107], v77, s[12:13]
	v_mul_u32_u24_sdwa v76, v86, s6 dst_sel:DWORD dst_unused:UNUSED_PAD src0_sel:WORD_0 src1_sel:DWORD
	v_lshrrev_b32_e32 v155, 18, v76
	v_mul_lo_u16_e32 v76, 13, v155
	v_sub_u16_e32 v156, v86, v76
	v_mul_u32_u24_e32 v76, 3, v156
	v_lshlrev_b32_e32 v82, 4, v76
	global_load_dwordx4 v[108:111], v82, s[12:13] offset:16
	global_load_dwordx4 v[112:115], v82, s[12:13]
	v_mul_u32_u24_sdwa v76, v85, s6 dst_sel:DWORD dst_unused:UNUSED_PAD src0_sel:WORD_0 src1_sel:DWORD
	v_lshrrev_b32_e32 v76, 18, v76
	v_mul_lo_u16_e32 v77, 13, v76
	v_sub_u16_e32 v77, v85, v77
	v_mul_u32_u24_e32 v83, 3, v77
	global_load_dwordx4 v[116:119], v82, s[12:13] offset:32
	v_lshlrev_b32_e32 v82, 4, v83
	global_load_dwordx4 v[120:123], v82, s[12:13]
	global_load_dwordx4 v[124:127], v82, s[12:13] offset:16
	global_load_dwordx4 v[128:131], v82, s[12:13] offset:32
	v_mul_u32_u24_e32 v72, 0x340, v72
	s_waitcnt vmcnt(0) lgkmcnt(0)
	s_barrier
	v_mul_f64 v[133:134], v[38:39], v[80:81]
	v_mul_f64 v[82:83], v[22:23], v[90:91]
	;; [unrolled: 1-line block ×16, first 2 shown]
	v_fma_f64 v[20:21], v[20:21], v[88:89], v[82:83]
	v_fma_f64 v[22:23], v[22:23], v[88:89], -v[90:91]
	v_fma_f64 v[36:37], v[36:37], v[78:79], v[133:134]
	v_fma_f64 v[38:39], v[38:39], v[78:79], -v[80:81]
	v_fma_f64 v[48:49], v[48:49], v[100:101], v[135:136]
	v_fma_f64 v[50:51], v[50:51], v[100:101], -v[102:103]
	v_mul_f64 v[147:148], v[34:35], v[118:119]
	v_mul_f64 v[118:119], v[32:33], v[118:119]
	;; [unrolled: 1-line block ×8, first 2 shown]
	v_fma_f64 v[40:41], v[40:41], v[104:105], v[137:138]
	v_fma_f64 v[42:43], v[42:43], v[104:105], -v[106:107]
	v_fma_f64 v[16:17], v[16:17], v[96:97], v[139:140]
	v_fma_f64 v[18:19], v[18:19], v[96:97], -v[98:99]
	;; [unrolled: 2-line block ×5, first 2 shown]
	v_add_f64 v[36:37], v[8:9], -v[36:37]
	v_add_f64 v[38:39], v[10:11], -v[38:39]
	;; [unrolled: 1-line block ×4, first 2 shown]
	v_fma_f64 v[28:29], v[32:33], v[116:117], v[147:148]
	v_fma_f64 v[30:31], v[34:35], v[116:117], -v[118:119]
	v_fma_f64 v[52:53], v[52:53], v[120:121], v[149:150]
	v_fma_f64 v[54:55], v[54:55], v[120:121], -v[122:123]
	;; [unrolled: 2-line block ×4, first 2 shown]
	v_add_f64 v[60:61], v[12:13], -v[16:17]
	v_add_f64 v[62:63], v[14:15], -v[18:19]
	;; [unrolled: 1-line block ×6, first 2 shown]
	v_fma_f64 v[8:9], v[8:9], 2.0, -v[36:37]
	v_fma_f64 v[10:11], v[10:11], 2.0, -v[38:39]
	;; [unrolled: 1-line block ×4, first 2 shown]
	v_add_f64 v[90:91], v[78:79], -v[28:29]
	v_add_f64 v[92:93], v[80:81], -v[30:31]
	;; [unrolled: 1-line block ×6, first 2 shown]
	v_add_f64 v[16:17], v[36:37], v[50:51]
	v_fma_f64 v[12:13], v[12:13], 2.0, -v[60:61]
	v_fma_f64 v[14:15], v[14:15], 2.0, -v[62:63]
	;; [unrolled: 1-line block ×4, first 2 shown]
	v_add_f64 v[18:19], v[38:39], -v[48:49]
	v_add_f64 v[24:25], v[8:9], -v[24:25]
	;; [unrolled: 1-line block ×3, first 2 shown]
	v_fma_f64 v[98:99], v[4:5], 2.0, -v[82:83]
	v_fma_f64 v[100:101], v[6:7], 2.0, -v[88:89]
	;; [unrolled: 1-line block ×3, first 2 shown]
	v_add_f64 v[28:29], v[12:13], -v[28:29]
	v_add_f64 v[30:31], v[14:15], -v[30:31]
	v_fma_f64 v[32:33], v[36:37], 2.0, -v[16:17]
	v_fma_f64 v[34:35], v[38:39], 2.0, -v[18:19]
	v_fma_f64 v[36:37], v[8:9], 2.0, -v[24:25]
	v_fma_f64 v[38:39], v[10:11], 2.0, -v[26:27]
	v_fma_f64 v[6:7], v[80:81], 2.0, -v[92:93]
	v_fma_f64 v[0:1], v[0:1], 2.0, -v[94:95]
	v_fma_f64 v[2:3], v[2:3], 2.0, -v[96:97]
	v_fma_f64 v[8:9], v[52:53], 2.0, -v[56:57]
	v_fma_f64 v[10:11], v[54:55], 2.0, -v[58:59]
	v_add_f64 v[20:21], v[60:61], v[46:47]
	v_add_f64 v[22:23], v[62:63], -v[44:45]
	v_fma_f64 v[40:41], v[12:13], 2.0, -v[28:29]
	v_fma_f64 v[42:43], v[14:15], 2.0, -v[30:31]
	v_add_f64 v[48:49], v[98:99], -v[4:5]
	v_add_f64 v[50:51], v[100:101], -v[6:7]
	v_add_f64 v[4:5], v[0:1], -v[8:9]
	v_add_f64 v[6:7], v[2:3], -v[10:11]
	v_add_f64 v[12:13], v[94:95], v[58:59]
	v_add_f64 v[14:15], v[96:97], -v[56:57]
	v_add_f64 v[52:53], v[82:83], v[92:93]
	v_add_f64 v[54:55], v[88:89], -v[90:91]
	v_fma_f64 v[44:45], v[60:61], 2.0, -v[20:21]
	v_fma_f64 v[46:47], v[62:63], 2.0, -v[22:23]
	;; [unrolled: 1-line block ×10, first 2 shown]
	v_mov_b32_e32 v78, 4
	v_lshlrev_b32_sdwa v73, v78, v73 dst_sel:DWORD dst_unused:UNUSED_PAD src0_sel:DWORD src1_sel:BYTE_0
	v_add3_u32 v72, 0, v72, v73
	ds_write_b128 v72, v[36:39]
	ds_write_b128 v72, v[32:35] offset:208
	ds_write_b128 v72, v[24:27] offset:416
	;; [unrolled: 1-line block ×3, first 2 shown]
	v_mul_u32_u24_e32 v16, 0x340, v74
	v_lshlrev_b32_e32 v17, 4, v75
	v_add3_u32 v16, 0, v16, v17
	ds_write_b128 v16, v[40:43]
	ds_write_b128 v16, v[44:47] offset:208
	ds_write_b128 v16, v[28:31] offset:416
	;; [unrolled: 1-line block ×3, first 2 shown]
	v_mul_u32_u24_e32 v16, 0x340, v155
	v_lshlrev_b32_e32 v17, 4, v156
	v_add3_u32 v16, 0, v16, v17
	ds_write_b128 v16, v[56:59]
	ds_write_b128 v16, v[60:63] offset:208
	ds_write_b128 v16, v[48:51] offset:416
	;; [unrolled: 1-line block ×3, first 2 shown]
	s_and_saveexec_b64 s[6:7], s[0:1]
	s_cbranch_execz .LBB0_17
; %bb.16:
	v_mul_lo_u16_e32 v16, 52, v76
	v_lshlrev_b32_e32 v17, 4, v77
	v_lshlrev_b32_e32 v16, 4, v16
	v_add3_u32 v16, 0, v17, v16
	ds_write_b128 v16, v[0:3]
	ds_write_b128 v16, v[8:11] offset:208
	ds_write_b128 v16, v[4:7] offset:416
	;; [unrolled: 1-line block ×3, first 2 shown]
.LBB0_17:
	s_or_b64 exec, exec, s[6:7]
	s_waitcnt lgkmcnt(0)
	s_barrier
	ds_read_b128 v[24:27], v68
	ds_read_b128 v[52:55], v68 offset:10816
	ds_read_b128 v[44:47], v68 offset:13312
	;; [unrolled: 1-line block ×5, first 2 shown]
	ds_read_b128 v[16:19], v70
	ds_read_b128 v[12:15], v71
	ds_read_b128 v[56:59], v68 offset:21632
	ds_read_b128 v[32:35], v68 offset:18304
	ds_read_b128 v[20:23], v69
	ds_read_b128 v[28:31], v68 offset:29120
	v_cmp_gt_u32_e64 s[0:1], 52, v84
	v_lshl_add_u32 v60, v84, 4, 0
	s_and_saveexec_b64 s[6:7], s[0:1]
	s_cbranch_execz .LBB0_19
; %bb.18:
	ds_read_b128 v[0:3], v60 offset:9984
	ds_read_b128 v[8:11], v68 offset:20800
	;; [unrolled: 1-line block ×3, first 2 shown]
.LBB0_19:
	s_or_b64 exec, exec, s[6:7]
	s_movk_i32 s6, 0x4f
	v_mul_lo_u16_sdwa v61, v84, s6 dst_sel:DWORD dst_unused:UNUSED_PAD src0_sel:BYTE_0 src1_sel:DWORD
	v_lshrrev_b16_e32 v63, 12, v61
	v_mul_lo_u16_e32 v61, 52, v63
	v_sub_u16_e32 v93, v84, v61
	v_mov_b32_e32 v61, 5
	v_lshlrev_b32_sdwa v61, v61, v93 dst_sel:DWORD dst_unused:UNUSED_PAD src0_sel:DWORD src1_sel:BYTE_0
	global_load_dwordx4 v[72:75], v61, s[12:13] offset:640
	global_load_dwordx4 v[76:79], v61, s[12:13] offset:624
	s_movk_i32 s16, 0x4ec5
	s_mov_b32 s6, 0xe8584caa
	s_mov_b32 s7, 0xbfebb67a
	;; [unrolled: 1-line block ×4, first 2 shown]
	s_waitcnt vmcnt(0) lgkmcnt(10)
	v_mul_f64 v[61:62], v[54:55], v[78:79]
	v_fma_f64 v[61:62], v[52:53], v[76:77], v[61:62]
	v_mul_f64 v[52:53], v[52:53], v[78:79]
	v_fma_f64 v[76:77], v[54:55], v[76:77], -v[52:53]
	s_waitcnt lgkmcnt(3)
	v_mul_f64 v[52:53], v[58:59], v[74:75]
	v_fma_f64 v[78:79], v[56:57], v[72:73], v[52:53]
	v_mul_f64 v[52:53], v[56:57], v[74:75]
	v_fma_f64 v[72:73], v[58:59], v[72:73], -v[52:53]
	v_mul_u32_u24_sdwa v52, v87, s16 dst_sel:DWORD dst_unused:UNUSED_PAD src0_sel:WORD_0 src1_sel:DWORD
	v_lshrrev_b32_e32 v94, 20, v52
	v_mul_lo_u16_e32 v52, 52, v94
	v_sub_u16_e32 v95, v87, v52
	v_lshlrev_b32_e32 v74, 5, v95
	global_load_dwordx4 v[52:55], v74, s[12:13] offset:640
	global_load_dwordx4 v[56:59], v74, s[12:13] offset:624
	s_waitcnt vmcnt(0)
	v_mul_f64 v[74:75], v[46:47], v[58:59]
	v_fma_f64 v[74:75], v[44:45], v[56:57], v[74:75]
	v_mul_f64 v[44:45], v[44:45], v[58:59]
	v_fma_f64 v[56:57], v[46:47], v[56:57], -v[44:45]
	v_mul_f64 v[44:45], v[50:51], v[54:55]
	v_fma_f64 v[58:59], v[48:49], v[52:53], v[44:45]
	v_mul_f64 v[44:45], v[48:49], v[54:55]
	v_fma_f64 v[52:53], v[50:51], v[52:53], -v[44:45]
	v_mul_u32_u24_sdwa v44, v86, s16 dst_sel:DWORD dst_unused:UNUSED_PAD src0_sel:WORD_0 src1_sel:DWORD
	v_lshrrev_b32_e32 v96, 20, v44
	v_mul_lo_u16_e32 v44, 52, v96
	v_sub_u16_e32 v97, v86, v44
	v_lshlrev_b32_e32 v54, 5, v97
	global_load_dwordx4 v[44:47], v54, s[12:13] offset:640
	global_load_dwordx4 v[48:51], v54, s[12:13] offset:624
	s_waitcnt vmcnt(0)
	v_mul_f64 v[54:55], v[42:43], v[50:51]
	v_fma_f64 v[54:55], v[40:41], v[48:49], v[54:55]
	v_mul_f64 v[40:41], v[40:41], v[50:51]
	v_fma_f64 v[50:51], v[42:43], v[48:49], -v[40:41]
	v_mul_f64 v[40:41], v[38:39], v[46:47]
	v_fma_f64 v[80:81], v[36:37], v[44:45], v[40:41]
	v_mul_f64 v[36:37], v[36:37], v[46:47]
	v_add_f64 v[46:47], v[54:55], v[80:81]
	v_fma_f64 v[82:83], v[38:39], v[44:45], -v[36:37]
	v_mul_u32_u24_sdwa v36, v85, s16 dst_sel:DWORD dst_unused:UNUSED_PAD src0_sel:WORD_0 src1_sel:DWORD
	v_lshrrev_b32_e32 v98, 20, v36
	v_mul_lo_u16_e32 v36, 52, v98
	v_sub_u16_e32 v99, v85, v36
	v_lshlrev_b32_e32 v44, 5, v99
	global_load_dwordx4 v[36:39], v44, s[12:13] offset:640
	global_load_dwordx4 v[40:43], v44, s[12:13] offset:624
	v_fma_f64 v[46:47], v[46:47], -0.5, v[16:17]
	v_add_f64 v[48:49], v[50:51], -v[82:83]
	s_waitcnt vmcnt(0) lgkmcnt(0)
	s_barrier
	v_mul_f64 v[44:45], v[34:35], v[42:43]
	v_fma_f64 v[85:86], v[32:33], v[40:41], v[44:45]
	v_mul_f64 v[32:33], v[32:33], v[42:43]
	v_add_f64 v[42:43], v[56:57], v[52:53]
	v_add_f64 v[44:45], v[74:75], -v[58:59]
	v_fma_f64 v[87:88], v[34:35], v[40:41], -v[32:33]
	v_mul_f64 v[32:33], v[30:31], v[38:39]
	v_add_f64 v[34:35], v[76:77], v[72:73]
	v_add_f64 v[40:41], v[56:57], -v[52:53]
	v_fma_f64 v[42:43], v[42:43], -0.5, v[22:23]
	v_fma_f64 v[89:90], v[28:29], v[36:37], v[32:33]
	v_mul_f64 v[28:29], v[28:29], v[38:39]
	v_add_f64 v[38:39], v[74:75], v[58:59]
	v_add_f64 v[32:33], v[76:77], -v[72:73]
	v_fma_f64 v[34:35], v[34:35], -0.5, v[26:27]
	v_fma_f64 v[91:92], v[30:31], v[36:37], -v[28:29]
	v_add_f64 v[30:31], v[61:62], v[78:79]
	v_add_f64 v[36:37], v[61:62], -v[78:79]
	v_fma_f64 v[38:39], v[38:39], -0.5, v[20:21]
	v_add_f64 v[28:29], v[24:25], v[61:62]
	v_add_f64 v[61:62], v[85:86], -v[89:90]
	v_fma_f64 v[30:31], v[30:31], -0.5, v[24:25]
	v_add_f64 v[28:29], v[28:29], v[78:79]
	v_fma_f64 v[24:25], v[32:33], s[6:7], v[30:31]
	v_fma_f64 v[32:33], v[32:33], s[8:9], v[30:31]
	v_add_f64 v[30:31], v[26:27], v[76:77]
	v_fma_f64 v[26:27], v[36:37], s[8:9], v[34:35]
	v_fma_f64 v[34:35], v[36:37], s[6:7], v[34:35]
	;; [unrolled: 3-line block ×5, first 2 shown]
	v_add_f64 v[46:47], v[18:19], v[50:51]
	v_add_f64 v[50:51], v[50:51], v[82:83]
	v_add_f64 v[38:39], v[38:39], v[52:53]
	v_add_f64 v[52:53], v[54:55], -v[80:81]
	v_add_f64 v[54:55], v[85:86], v[89:90]
	v_add_f64 v[36:37], v[36:37], v[58:59]
	;; [unrolled: 1-line block ×3, first 2 shown]
	v_add_f64 v[56:57], v[87:88], -v[91:92]
	v_add_f64 v[30:31], v[30:31], v[72:73]
	v_fma_f64 v[50:51], v[50:51], -0.5, v[18:19]
	v_add_f64 v[44:45], v[44:45], v[80:81]
	v_add_f64 v[46:47], v[46:47], v[82:83]
	v_fma_f64 v[54:55], v[54:55], -0.5, v[12:13]
	v_fma_f64 v[58:59], v[58:59], -0.5, v[14:15]
	v_fma_f64 v[18:19], v[52:53], s[8:9], v[50:51]
	v_fma_f64 v[50:51], v[52:53], s[6:7], v[50:51]
	v_add_f64 v[52:53], v[12:13], v[85:86]
	v_fma_f64 v[12:13], v[56:57], s[6:7], v[54:55]
	v_fma_f64 v[56:57], v[56:57], s[8:9], v[54:55]
	v_add_f64 v[54:55], v[14:15], v[87:88]
	v_fma_f64 v[14:15], v[61:62], s[8:9], v[58:59]
	v_fma_f64 v[58:59], v[61:62], s[6:7], v[58:59]
	v_mov_b32_e32 v62, 4
	v_mul_u32_u24_e32 v61, 0x9c0, v63
	v_add_f64 v[52:53], v[52:53], v[89:90]
	v_lshlrev_b32_sdwa v62, v62, v93 dst_sel:DWORD dst_unused:UNUSED_PAD src0_sel:DWORD src1_sel:BYTE_0
	v_add3_u32 v61, 0, v61, v62
	v_add_f64 v[54:55], v[54:55], v[91:92]
	ds_write_b128 v61, v[28:31]
	ds_write_b128 v61, v[24:27] offset:832
	ds_write_b128 v61, v[32:35] offset:1664
	v_mul_u32_u24_e32 v24, 0x9c0, v94
	v_lshlrev_b32_e32 v25, 4, v95
	v_add3_u32 v24, 0, v24, v25
	ds_write_b128 v24, v[36:39]
	ds_write_b128 v24, v[20:23] offset:832
	ds_write_b128 v24, v[40:43] offset:1664
	v_mul_u32_u24_e32 v20, 0x9c0, v96
	v_lshlrev_b32_e32 v21, 4, v97
	v_add3_u32 v20, 0, v20, v21
	;; [unrolled: 6-line block ×3, first 2 shown]
	ds_write_b128 v16, v[52:55]
	ds_write_b128 v16, v[12:15] offset:832
	ds_write_b128 v16, v[56:59] offset:1664
	s_and_saveexec_b64 s[14:15], s[0:1]
	s_cbranch_execz .LBB0_21
; %bb.20:
	v_add_u32_e32 v12, 0x270, v84
	v_mul_u32_u24_sdwa v13, v12, s16 dst_sel:DWORD dst_unused:UNUSED_PAD src0_sel:WORD_0 src1_sel:DWORD
	v_lshrrev_b32_e32 v13, 20, v13
	v_mul_lo_u16_e32 v13, 52, v13
	v_sub_u16_e32 v24, v12, v13
	v_lshlrev_b32_e32 v20, 5, v24
	global_load_dwordx4 v[12:15], v20, s[12:13] offset:624
	global_load_dwordx4 v[16:19], v20, s[12:13] offset:640
	s_waitcnt vmcnt(1)
	v_mul_f64 v[20:21], v[8:9], v[14:15]
	s_waitcnt vmcnt(0)
	v_mul_f64 v[22:23], v[4:5], v[18:19]
	v_mul_f64 v[14:15], v[10:11], v[14:15]
	;; [unrolled: 1-line block ×3, first 2 shown]
	v_fma_f64 v[10:11], v[10:11], v[12:13], -v[20:21]
	v_fma_f64 v[6:7], v[6:7], v[16:17], -v[22:23]
	v_fma_f64 v[8:9], v[8:9], v[12:13], v[14:15]
	v_fma_f64 v[4:5], v[4:5], v[16:17], v[18:19]
	v_add_f64 v[18:19], v[2:3], v[10:11]
	v_add_f64 v[12:13], v[10:11], v[6:7]
	v_add_f64 v[20:21], v[10:11], -v[6:7]
	v_add_f64 v[14:15], v[8:9], v[4:5]
	v_add_f64 v[16:17], v[8:9], -v[4:5]
	v_add_f64 v[8:9], v[0:1], v[8:9]
	v_fma_f64 v[12:13], v[12:13], -0.5, v[2:3]
	v_add_f64 v[2:3], v[18:19], v[6:7]
	v_fma_f64 v[14:15], v[14:15], -0.5, v[0:1]
	v_add_f64 v[0:1], v[8:9], v[4:5]
	v_fma_f64 v[10:11], v[16:17], s[8:9], v[12:13]
	v_fma_f64 v[6:7], v[16:17], s[6:7], v[12:13]
	v_fma_f64 v[8:9], v[20:21], s[6:7], v[14:15]
	v_fma_f64 v[4:5], v[20:21], s[8:9], v[14:15]
	v_lshl_add_u32 v12, v24, 4, 0
	ds_write_b128 v12, v[0:3] offset:29952
	ds_write_b128 v12, v[8:11] offset:30784
	;; [unrolled: 1-line block ×3, first 2 shown]
.LBB0_21:
	s_or_b64 exec, exec, s[14:15]
	s_waitcnt lgkmcnt(0)
	s_barrier
	s_and_saveexec_b64 s[0:1], vcc
	s_cbranch_execz .LBB0_23
; %bb.22:
	v_mul_u32_u24_e32 v0, 12, v84
	v_lshlrev_b32_e32 v0, 4, v0
	global_load_dwordx4 v[12:15], v0, s[12:13] offset:2368
	global_load_dwordx4 v[8:11], v0, s[12:13] offset:2384
	;; [unrolled: 1-line block ×12, first 2 shown]
	ds_read_b128 v[50:53], v68 offset:14976
	ds_read_b128 v[72:75], v68 offset:17472
	;; [unrolled: 1-line block ×5, first 2 shown]
	ds_read_b128 v[86:89], v71
	ds_read_b128 v[94:97], v70
	ds_read_b128 v[102:105], v68 offset:24960
	ds_read_b128 v[108:111], v68 offset:27456
	;; [unrolled: 1-line block ×3, first 2 shown]
	ds_read_b128 v[0:3], v68
	ds_read_b128 v[98:101], v69
	ds_read_b128 v[68:71], v68 offset:29952
	s_mov_b32 s14, 0x4bc48dbf
	s_mov_b32 s15, 0xbfcea1e5
	;; [unrolled: 1-line block ×31, first 2 shown]
	s_waitcnt vmcnt(11) lgkmcnt(12)
	v_mul_f64 v[32:33], v[14:15], v[52:53]
	s_waitcnt vmcnt(10) lgkmcnt(11)
	v_mul_f64 v[62:63], v[10:11], v[74:75]
	;; [unrolled: 2-line block ×3, first 2 shown]
	v_mul_f64 v[14:15], v[50:51], v[14:15]
	s_waitcnt vmcnt(7)
	v_mul_f64 v[106:107], v[22:23], v[60:61]
	v_mul_f64 v[18:19], v[90:91], v[18:19]
	s_waitcnt vmcnt(5)
	v_mul_f64 v[116:117], v[30:31], v[88:89]
	s_waitcnt vmcnt(4)
	;; [unrolled: 2-line block ×3, first 2 shown]
	v_mul_f64 v[124:125], v[40:41], v[96:97]
	s_waitcnt vmcnt(2) lgkmcnt(1)
	v_mul_f64 v[118:119], v[36:37], v[100:101]
	s_waitcnt vmcnt(1) lgkmcnt(0)
	v_mul_f64 v[126:127], v[44:45], v[70:71]
	v_mul_f64 v[133:134], v[98:99], v[36:37]
	;; [unrolled: 1-line block ×4, first 2 shown]
	s_waitcnt vmcnt(0)
	v_mul_f64 v[128:129], v[56:57], v[110:111]
	v_mul_f64 v[130:131], v[94:95], v[40:41]
	v_mul_f64 v[137:138], v[108:109], v[56:57]
	v_fma_f64 v[50:51], v[12:13], v[50:51], v[32:33]
	v_fma_f64 v[48:49], v[8:9], v[72:73], v[62:63]
	;; [unrolled: 1-line block ×7, first 2 shown]
	v_fma_f64 v[124:125], v[34:35], v[100:101], -v[133:134]
	v_fma_f64 v[34:35], v[42:43], v[70:71], -v[135:136]
	v_mul_f64 v[112:113], v[6:7], v[78:79]
	v_mul_f64 v[6:7], v[76:77], v[6:7]
	;; [unrolled: 1-line block ×3, first 2 shown]
	v_fma_f64 v[98:99], v[28:29], v[86:87], v[116:117]
	v_fma_f64 v[36:37], v[54:55], v[108:109], v[128:129]
	;; [unrolled: 1-line block ×3, first 2 shown]
	v_fma_f64 v[116:117], v[38:39], v[96:97], -v[130:131]
	v_fma_f64 v[38:39], v[54:55], v[110:111], -v[137:138]
	v_add_f64 v[130:131], v[118:119], -v[32:33]
	v_add_f64 v[120:121], v[124:125], -v[34:35]
	v_mul_f64 v[10:11], v[72:73], v[10:11]
	v_mul_f64 v[114:115], v[26:27], v[82:83]
	v_mul_f64 v[22:23], v[58:59], v[22:23]
	v_mul_f64 v[26:27], v[80:81], v[26:27]
	v_fma_f64 v[102:103], v[28:29], v[88:89], -v[30:31]
	v_fma_f64 v[46:47], v[46:47], v[104:105], -v[122:123]
	v_fma_f64 v[54:55], v[4:5], v[76:77], v[112:113]
	v_fma_f64 v[58:59], v[4:5], v[78:79], -v[6:7]
	v_add_f64 v[128:129], v[106:107], -v[36:37]
	v_add_f64 v[108:109], v[124:125], v[34:35]
	v_add_f64 v[96:97], v[116:117], -v[38:39]
	v_add_f64 v[110:111], v[118:119], v[32:33]
	v_mul_f64 v[4:5], v[130:131], s[14:15]
	v_mul_f64 v[6:7], v[120:121], s[14:15]
	v_fma_f64 v[56:57], v[12:13], v[52:53], -v[14:15]
	v_fma_f64 v[52:53], v[8:9], v[74:75], -v[10:11]
	;; [unrolled: 1-line block ×4, first 2 shown]
	v_fma_f64 v[40:41], v[24:25], v[80:81], v[114:115]
	v_fma_f64 v[44:45], v[24:25], v[82:83], -v[26:27]
	v_add_f64 v[78:79], v[116:117], v[38:39]
	v_add_f64 v[126:127], v[98:99], -v[42:43]
	v_add_f64 v[86:87], v[102:103], -v[46:47]
	v_add_f64 v[88:89], v[106:107], v[36:37]
	v_mul_f64 v[8:9], v[128:129], s[18:19]
	v_fma_f64 v[10:11], v[108:109], s[12:13], v[4:5]
	v_mul_f64 v[12:13], v[96:97], s[18:19]
	v_fma_f64 v[14:15], v[110:111], s[12:13], -v[6:7]
	v_add_f64 v[112:113], v[90:91], -v[40:41]
	v_add_f64 v[72:73], v[102:103], v[46:47]
	v_add_f64 v[82:83], v[92:93], -v[44:45]
	v_add_f64 v[76:77], v[98:99], v[42:43]
	v_mul_f64 v[16:17], v[126:127], s[8:9]
	v_fma_f64 v[18:19], v[78:79], s[16:17], v[8:9]
	v_add_f64 v[10:11], v[2:3], v[10:11]
	v_mul_f64 v[20:21], v[86:87], s[8:9]
	v_fma_f64 v[22:23], v[88:89], s[16:17], -v[12:13]
	v_add_f64 v[14:15], v[0:1], v[14:15]
	v_add_f64 v[60:61], v[92:93], v[44:45]
	;; [unrolled: 1-line block ×3, first 2 shown]
	v_add_f64 v[94:95], v[84:85], -v[58:59]
	v_mul_f64 v[24:25], v[112:113], s[24:25]
	v_fma_f64 v[26:27], v[72:73], s[6:7], v[16:17]
	v_add_f64 v[10:11], v[18:19], v[10:11]
	v_mul_f64 v[18:19], v[82:83], s[24:25]
	v_fma_f64 v[28:29], v[76:77], s[6:7], -v[20:21]
	v_add_f64 v[14:15], v[22:23], v[14:15]
	v_add_f64 v[114:115], v[62:63], -v[54:55]
	v_add_f64 v[74:75], v[62:63], v[54:55]
	v_fma_f64 v[30:31], v[60:61], s[0:1], v[24:25]
	v_add_f64 v[70:71], v[84:85], v[58:59]
	v_add_f64 v[10:11], v[26:27], v[10:11]
	v_mul_f64 v[26:27], v[94:95], s[20:21]
	v_fma_f64 v[133:134], v[68:69], s[0:1], -v[18:19]
	v_add_f64 v[14:15], v[28:29], v[14:15]
	v_add_f64 v[104:105], v[50:51], -v[48:49]
	v_mul_f64 v[22:23], v[114:115], s[20:21]
	v_add_f64 v[122:123], v[56:57], -v[52:53]
	v_fma_f64 v[4:5], v[108:109], s[12:13], -v[4:5]
	v_add_f64 v[10:11], v[30:31], v[10:11]
	v_fma_f64 v[30:31], v[74:75], s[22:23], -v[26:27]
	v_fma_f64 v[6:7], v[110:111], s[12:13], v[6:7]
	v_add_f64 v[14:15], v[133:134], v[14:15]
	v_add_f64 v[80:81], v[56:57], v[52:53]
	;; [unrolled: 1-line block ×3, first 2 shown]
	v_fma_f64 v[28:29], v[70:71], s[22:23], v[22:23]
	v_mul_f64 v[133:134], v[104:105], s[30:31]
	v_mul_f64 v[135:136], v[122:123], s[30:31]
	v_fma_f64 v[8:9], v[78:79], s[16:17], -v[8:9]
	v_add_f64 v[4:5], v[2:3], v[4:5]
	v_fma_f64 v[12:13], v[88:89], s[16:17], v[12:13]
	v_add_f64 v[6:7], v[0:1], v[6:7]
	v_add_f64 v[14:15], v[30:31], v[14:15]
	v_mul_f64 v[30:31], v[130:131], s[8:9]
	v_add_f64 v[10:11], v[28:29], v[10:11]
	v_fma_f64 v[28:29], v[80:81], s[26:27], v[133:134]
	v_fma_f64 v[137:138], v[100:101], s[26:27], -v[135:136]
	v_add_f64 v[8:9], v[8:9], v[4:5]
	v_fma_f64 v[16:17], v[72:73], s[6:7], -v[16:17]
	v_add_f64 v[12:13], v[12:13], v[6:7]
	v_fma_f64 v[20:21], v[76:77], s[6:7], v[20:21]
	v_fma_f64 v[139:140], v[108:109], s[6:7], v[30:31]
	v_mul_f64 v[141:142], v[128:129], s[30:31]
	v_add_f64 v[6:7], v[28:29], v[10:11]
	v_add_f64 v[4:5], v[137:138], v[14:15]
	v_fma_f64 v[14:15], v[68:69], s[0:1], v[18:19]
	v_add_f64 v[8:9], v[16:17], v[8:9]
	v_mul_f64 v[28:29], v[112:113], s[38:39]
	v_add_f64 v[10:11], v[20:21], v[12:13]
	v_fma_f64 v[12:13], v[60:61], s[0:1], -v[24:25]
	v_add_f64 v[16:17], v[2:3], v[139:140]
	v_fma_f64 v[18:19], v[78:79], s[26:27], v[141:142]
	v_mul_f64 v[20:21], v[120:121], s[8:9]
	v_mul_f64 v[24:25], v[126:127], s[28:29]
	v_fma_f64 v[133:134], v[80:81], s[26:27], -v[133:134]
	v_mul_f64 v[137:138], v[114:115], s[18:19]
	v_add_f64 v[10:11], v[14:15], v[10:11]
	v_add_f64 v[8:9], v[12:13], v[8:9]
	v_fma_f64 v[12:13], v[70:71], s[22:23], -v[22:23]
	v_fma_f64 v[14:15], v[74:75], s[22:23], v[26:27]
	v_add_f64 v[16:17], v[18:19], v[16:17]
	v_fma_f64 v[18:19], v[110:111], s[6:7], -v[20:21]
	v_mul_f64 v[22:23], v[96:97], s[30:31]
	v_fma_f64 v[26:27], v[72:73], s[0:1], v[24:25]
	v_fma_f64 v[30:31], v[108:109], s[6:7], -v[30:31]
	v_mul_f64 v[143:144], v[82:83], s[38:39]
	v_add_f64 v[8:9], v[12:13], v[8:9]
	v_add_f64 v[12:13], v[14:15], v[10:11]
	v_fma_f64 v[20:21], v[110:111], s[6:7], v[20:21]
	v_add_f64 v[10:11], v[0:1], v[18:19]
	v_fma_f64 v[14:15], v[88:89], s[26:27], -v[22:23]
	v_mul_f64 v[18:19], v[86:87], s[28:29]
	v_add_f64 v[16:17], v[26:27], v[16:17]
	v_fma_f64 v[26:27], v[60:61], s[12:13], v[28:29]
	v_fma_f64 v[135:136], v[100:101], s[26:27], v[135:136]
	;; [unrolled: 1-line block ×3, first 2 shown]
	v_add_f64 v[20:21], v[0:1], v[20:21]
	v_fma_f64 v[24:25], v[72:73], s[0:1], -v[24:25]
	v_add_f64 v[14:15], v[14:15], v[10:11]
	v_fma_f64 v[139:140], v[76:77], s[0:1], -v[18:19]
	v_add_f64 v[10:11], v[133:134], v[8:9]
	v_add_f64 v[8:9], v[26:27], v[16:17]
	v_fma_f64 v[16:17], v[78:79], s[26:27], -v[141:142]
	v_add_f64 v[26:27], v[2:3], v[30:31]
	v_fma_f64 v[30:31], v[70:71], s[16:17], v[137:138]
	v_fma_f64 v[133:134], v[68:69], s[12:13], -v[143:144]
	v_mul_f64 v[141:142], v[104:105], s[20:21]
	v_add_f64 v[14:15], v[139:140], v[14:15]
	v_mul_f64 v[139:140], v[94:95], s[18:19]
	v_mul_f64 v[145:146], v[122:123], s[20:21]
	v_add_f64 v[20:21], v[22:23], v[20:21]
	v_add_f64 v[16:17], v[16:17], v[26:27]
	;; [unrolled: 1-line block ×3, first 2 shown]
	v_fma_f64 v[18:19], v[76:77], s[0:1], v[18:19]
	v_fma_f64 v[22:23], v[60:61], s[12:13], -v[28:29]
	v_add_f64 v[14:15], v[133:134], v[14:15]
	v_fma_f64 v[30:31], v[74:75], s[16:17], -v[139:140]
	v_fma_f64 v[133:134], v[80:81], s[22:23], v[141:142]
	v_add_f64 v[8:9], v[135:136], v[12:13]
	v_add_f64 v[16:17], v[24:25], v[16:17]
	v_fma_f64 v[24:25], v[100:101], s[22:23], -v[145:146]
	v_add_f64 v[18:19], v[18:19], v[20:21]
	v_fma_f64 v[20:21], v[68:69], s[12:13], v[143:144]
	v_mul_f64 v[28:29], v[120:121], s[20:21]
	v_add_f64 v[12:13], v[30:31], v[14:15]
	v_add_f64 v[14:15], v[133:134], v[26:27]
	v_mul_f64 v[26:27], v[130:131], s[20:21]
	v_add_f64 v[16:17], v[22:23], v[16:17]
	v_fma_f64 v[22:23], v[70:71], s[16:17], -v[137:138]
	v_mul_f64 v[133:134], v[128:129], s[36:37]
	v_add_f64 v[18:19], v[20:21], v[18:19]
	v_fma_f64 v[20:21], v[74:75], s[16:17], v[139:140]
	v_add_f64 v[12:13], v[24:25], v[12:13]
	v_mul_f64 v[24:25], v[96:97], s[36:37]
	v_fma_f64 v[30:31], v[108:109], s[22:23], v[26:27]
	v_mul_f64 v[137:138], v[126:127], s[18:19]
	v_add_f64 v[16:17], v[22:23], v[16:17]
	v_fma_f64 v[22:23], v[110:111], s[22:23], -v[28:29]
	v_fma_f64 v[135:136], v[78:79], s[6:7], v[133:134]
	v_add_f64 v[20:21], v[20:21], v[18:19]
	v_fma_f64 v[18:19], v[80:81], s[22:23], -v[141:142]
	v_fma_f64 v[139:140], v[100:101], s[22:23], v[145:146]
	v_add_f64 v[30:31], v[2:3], v[30:31]
	v_fma_f64 v[141:142], v[88:89], s[6:7], -v[24:25]
	v_mul_f64 v[143:144], v[86:87], s[18:19]
	v_add_f64 v[22:23], v[0:1], v[22:23]
	v_mul_f64 v[145:146], v[112:113], s[34:35]
	v_fma_f64 v[26:27], v[108:109], s[22:23], -v[26:27]
	v_fma_f64 v[28:29], v[110:111], s[22:23], v[28:29]
	v_add_f64 v[18:19], v[18:19], v[16:17]
	v_add_f64 v[30:31], v[135:136], v[30:31]
	v_fma_f64 v[135:136], v[72:73], s[16:17], v[137:138]
	v_mul_f64 v[147:148], v[82:83], s[34:35]
	v_add_f64 v[22:23], v[141:142], v[22:23]
	v_fma_f64 v[141:142], v[76:77], s[16:17], -v[143:144]
	v_add_f64 v[16:17], v[139:140], v[20:21]
	v_fma_f64 v[133:134], v[78:79], s[6:7], -v[133:134]
	v_add_f64 v[26:27], v[2:3], v[26:27]
	v_fma_f64 v[24:25], v[88:89], s[6:7], v[24:25]
	v_add_f64 v[20:21], v[135:136], v[30:31]
	v_fma_f64 v[30:31], v[60:61], s[26:27], v[145:146]
	v_mul_f64 v[135:136], v[114:115], s[38:39]
	v_add_f64 v[28:29], v[0:1], v[28:29]
	v_add_f64 v[22:23], v[141:142], v[22:23]
	v_fma_f64 v[139:140], v[68:69], s[26:27], -v[147:148]
	v_mul_f64 v[141:142], v[94:95], s[38:39]
	v_mul_f64 v[149:150], v[104:105], s[24:25]
	v_add_f64 v[26:27], v[133:134], v[26:27]
	v_add_f64 v[20:21], v[30:31], v[20:21]
	v_fma_f64 v[30:31], v[70:71], s[12:13], v[135:136]
	v_fma_f64 v[133:134], v[72:73], s[16:17], -v[137:138]
	v_add_f64 v[24:25], v[24:25], v[28:29]
	v_fma_f64 v[28:29], v[76:77], s[16:17], v[143:144]
	v_add_f64 v[22:23], v[139:140], v[22:23]
	v_fma_f64 v[139:140], v[74:75], s[12:13], -v[141:142]
	v_mul_f64 v[137:138], v[130:131], s[34:35]
	v_mul_f64 v[143:144], v[122:123], s[24:25]
	v_add_f64 v[20:21], v[30:31], v[20:21]
	v_fma_f64 v[30:31], v[80:81], s[0:1], v[149:150]
	v_add_f64 v[26:27], v[133:134], v[26:27]
	v_fma_f64 v[133:134], v[60:61], s[26:27], -v[145:146]
	v_add_f64 v[24:25], v[28:29], v[24:25]
	v_fma_f64 v[28:29], v[68:69], s[26:27], v[147:148]
	v_mul_f64 v[145:146], v[120:121], s[34:35]
	v_add_f64 v[139:140], v[139:140], v[22:23]
	v_mul_f64 v[151:152], v[96:97], s[14:15]
	v_add_f64 v[22:23], v[30:31], v[20:21]
	v_fma_f64 v[20:21], v[108:109], s[26:27], v[137:138]
	v_mul_f64 v[30:31], v[128:129], s[14:15]
	v_add_f64 v[26:27], v[133:134], v[26:27]
	v_fma_f64 v[133:134], v[70:71], s[12:13], -v[135:136]
	v_add_f64 v[24:25], v[28:29], v[24:25]
	v_fma_f64 v[28:29], v[74:75], s[12:13], v[141:142]
	v_fma_f64 v[141:142], v[110:111], s[26:27], -v[145:146]
	s_mov_b32 s25, 0x3fedeba7
	s_mov_b32 s24, s20
	v_fma_f64 v[147:148], v[100:101], s[0:1], -v[143:144]
	v_add_f64 v[20:21], v[2:3], v[20:21]
	v_fma_f64 v[135:136], v[78:79], s[12:13], v[30:31]
	v_mul_f64 v[153:154], v[126:127], s[24:25]
	v_add_f64 v[26:27], v[133:134], v[26:27]
	v_add_f64 v[24:25], v[28:29], v[24:25]
	v_fma_f64 v[28:29], v[80:81], s[0:1], -v[149:150]
	v_add_f64 v[133:134], v[0:1], v[141:142]
	v_fma_f64 v[141:142], v[88:89], s[12:13], -v[151:152]
	v_mul_f64 v[149:150], v[86:87], s[24:25]
	v_add_f64 v[135:136], v[135:136], v[20:21]
	v_fma_f64 v[155:156], v[72:73], s[22:23], v[153:154]
	v_mul_f64 v[157:158], v[112:113], s[18:19]
	v_fma_f64 v[143:144], v[100:101], s[0:1], v[143:144]
	v_add_f64 v[20:21], v[147:148], v[139:140]
	v_add_f64 v[26:27], v[28:29], v[26:27]
	;; [unrolled: 1-line block ×3, first 2 shown]
	v_fma_f64 v[133:134], v[76:77], s[22:23], -v[149:150]
	v_mul_f64 v[139:140], v[82:83], s[18:19]
	v_add_f64 v[135:136], v[155:156], v[135:136]
	v_fma_f64 v[141:142], v[60:61], s[16:17], v[157:158]
	v_add_f64 v[24:25], v[143:144], v[24:25]
	v_fma_f64 v[137:138], v[108:109], s[26:27], -v[137:138]
	v_mul_f64 v[143:144], v[114:115], s[28:29]
	v_fma_f64 v[145:146], v[110:111], s[26:27], v[145:146]
	v_add_f64 v[28:29], v[133:134], v[28:29]
	v_fma_f64 v[133:134], v[68:69], s[16:17], -v[139:140]
	v_mul_f64 v[147:148], v[94:95], s[28:29]
	v_add_f64 v[135:136], v[141:142], v[135:136]
	v_fma_f64 v[30:31], v[78:79], s[12:13], -v[30:31]
	v_add_f64 v[137:138], v[2:3], v[137:138]
	v_fma_f64 v[141:142], v[88:89], s[12:13], v[151:152]
	v_add_f64 v[145:146], v[0:1], v[145:146]
	v_fma_f64 v[151:152], v[70:71], s[0:1], v[143:144]
	v_add_f64 v[28:29], v[133:134], v[28:29]
	v_fma_f64 v[133:134], v[74:75], s[0:1], -v[147:148]
	v_mul_f64 v[155:156], v[104:105], s[8:9]
	v_mul_f64 v[159:160], v[122:123], s[8:9]
	v_add_f64 v[30:31], v[30:31], v[137:138]
	v_fma_f64 v[137:138], v[72:73], s[22:23], -v[153:154]
	v_add_f64 v[141:142], v[141:142], v[145:146]
	v_fma_f64 v[145:146], v[76:77], s[22:23], v[149:150]
	v_add_f64 v[135:136], v[151:152], v[135:136]
	v_add_f64 v[28:29], v[133:134], v[28:29]
	v_fma_f64 v[133:134], v[80:81], s[6:7], v[155:156]
	v_fma_f64 v[149:150], v[100:101], s[6:7], -v[159:160]
	v_mul_f64 v[151:152], v[130:131], s[28:29]
	v_add_f64 v[137:138], v[137:138], v[30:31]
	v_fma_f64 v[153:154], v[60:61], s[16:17], -v[157:158]
	v_add_f64 v[141:142], v[145:146], v[141:142]
	v_fma_f64 v[139:140], v[68:69], s[16:17], v[139:140]
	v_mul_f64 v[145:146], v[120:121], s[28:29]
	v_add_f64 v[30:31], v[133:134], v[135:136]
	v_add_f64 v[28:29], v[149:150], v[28:29]
	v_fma_f64 v[133:134], v[108:109], s[0:1], v[151:152]
	v_mul_f64 v[149:150], v[128:129], s[20:21]
	v_add_f64 v[135:136], v[153:154], v[137:138]
	v_fma_f64 v[137:138], v[70:71], s[0:1], -v[143:144]
	v_add_f64 v[139:140], v[139:140], v[141:142]
	v_fma_f64 v[141:142], v[110:111], s[0:1], -v[145:146]
	v_mul_f64 v[143:144], v[96:97], s[20:21]
	v_fma_f64 v[147:148], v[74:75], s[0:1], v[147:148]
	v_add_f64 v[133:134], v[2:3], v[133:134]
	v_fma_f64 v[153:154], v[78:79], s[22:23], v[149:150]
	v_mul_f64 v[157:158], v[126:127], s[14:15]
	v_add_f64 v[135:136], v[137:138], v[135:136]
	v_fma_f64 v[137:138], v[80:81], s[6:7], -v[155:156]
	v_add_f64 v[141:142], v[0:1], v[141:142]
	v_fma_f64 v[155:156], v[88:89], s[22:23], -v[143:144]
	v_add_f64 v[139:140], v[147:148], v[139:140]
	v_mul_f64 v[147:148], v[86:87], s[14:15]
	v_add_f64 v[133:134], v[153:154], v[133:134]
	v_fma_f64 v[153:154], v[72:73], s[12:13], v[157:158]
	v_mul_f64 v[161:162], v[112:113], s[36:37]
	v_add_f64 v[135:136], v[137:138], v[135:136]
	v_mul_f64 v[163:164], v[114:115], s[30:31]
	v_add_f64 v[137:138], v[155:156], v[141:142]
	v_fma_f64 v[141:142], v[108:109], s[0:1], -v[151:152]
	v_fma_f64 v[151:152], v[76:77], s[12:13], -v[147:148]
	v_mul_f64 v[155:156], v[82:83], s[36:37]
	v_add_f64 v[133:134], v[153:154], v[133:134]
	v_fma_f64 v[153:154], v[60:61], s[6:7], v[161:162]
	v_fma_f64 v[145:146], v[110:111], s[0:1], v[145:146]
	v_mul_f64 v[165:166], v[94:95], s[30:31]
	v_fma_f64 v[143:144], v[88:89], s[22:23], v[143:144]
	v_fma_f64 v[149:150], v[78:79], s[22:23], -v[149:150]
	v_add_f64 v[137:138], v[151:152], v[137:138]
	v_fma_f64 v[151:152], v[68:69], s[6:7], -v[155:156]
	v_add_f64 v[141:142], v[2:3], v[141:142]
	v_add_f64 v[133:134], v[153:154], v[133:134]
	v_fma_f64 v[153:154], v[70:71], s[26:27], v[163:164]
	v_add_f64 v[145:146], v[0:1], v[145:146]
	v_add_f64 v[124:125], v[2:3], v[124:125]
	v_mul_f64 v[167:168], v[122:123], s[18:19]
	v_fma_f64 v[159:160], v[100:101], s[6:7], v[159:160]
	v_add_f64 v[137:138], v[151:152], v[137:138]
	v_fma_f64 v[151:152], v[74:75], s[26:27], -v[165:166]
	v_add_f64 v[141:142], v[149:150], v[141:142]
	v_add_f64 v[153:154], v[153:154], v[133:134]
	;; [unrolled: 1-line block ×3, first 2 shown]
	v_fma_f64 v[143:144], v[76:77], s[12:13], v[147:148]
	v_fma_f64 v[149:150], v[72:73], s[12:13], -v[157:158]
	v_mul_f64 v[157:158], v[104:105], s[18:19]
	s_mov_b32 s19, 0xbfddbe06
	v_add_f64 v[137:138], v[151:152], v[137:138]
	v_fma_f64 v[151:152], v[68:69], s[6:7], v[155:156]
	v_mul_f64 v[130:131], v[130:131], s[18:19]
	v_add_f64 v[124:125], v[116:117], v[124:125]
	v_add_f64 v[143:144], v[143:144], v[133:134]
	;; [unrolled: 1-line block ×3, first 2 shown]
	v_fma_f64 v[147:148], v[80:81], s[16:17], v[157:158]
	v_add_f64 v[141:142], v[149:150], v[141:142]
	v_fma_f64 v[145:146], v[60:61], s[6:7], -v[161:162]
	v_mul_f64 v[128:129], v[128:129], s[28:29]
	v_mul_f64 v[120:121], v[120:121], s[18:19]
	v_add_f64 v[102:103], v[102:103], v[124:125]
	v_add_f64 v[143:144], v[151:152], v[143:144]
	;; [unrolled: 1-line block ×4, first 2 shown]
	v_fma_f64 v[147:148], v[108:109], s[16:17], v[130:131]
	v_fma_f64 v[108:109], v[108:109], s[16:17], -v[130:131]
	v_add_f64 v[141:142], v[145:146], v[141:142]
	v_fma_f64 v[145:146], v[70:71], s[26:27], -v[163:164]
	v_add_f64 v[92:93], v[92:93], v[102:103]
	v_fma_f64 v[153:154], v[78:79], s[0:1], v[128:129]
	v_add_f64 v[106:107], v[106:107], v[151:152]
	v_mul_f64 v[126:127], v[126:127], s[34:35]
	v_add_f64 v[147:148], v[2:3], v[147:148]
	v_add_f64 v[108:109], v[2:3], v[108:109]
	v_fma_f64 v[124:125], v[110:111], s[16:17], -v[120:121]
	v_add_f64 v[141:142], v[145:146], v[141:142]
	v_fma_f64 v[145:146], v[80:81], s[16:17], -v[157:158]
	v_add_f64 v[84:85], v[84:85], v[92:93]
	v_add_f64 v[98:99], v[98:99], v[106:107]
	v_mul_f64 v[92:93], v[96:97], s[28:29]
	v_fma_f64 v[110:111], v[110:111], s[16:17], v[120:121]
	v_mul_f64 v[112:113], v[112:113], s[20:21]
	v_add_f64 v[102:103], v[0:1], v[124:125]
	v_fma_f64 v[78:79], v[78:79], s[0:1], -v[128:129]
	v_add_f64 v[118:119], v[145:146], v[141:142]
	v_add_f64 v[141:142], v[153:154], v[147:148]
	;; [unrolled: 1-line block ×3, first 2 shown]
	v_fma_f64 v[145:146], v[72:73], s[26:27], v[126:127]
	v_add_f64 v[56:57], v[56:57], v[84:85]
	v_fma_f64 v[84:85], v[88:89], s[0:1], -v[92:93]
	v_mul_f64 v[86:87], v[86:87], s[34:35]
	v_add_f64 v[0:1], v[0:1], v[110:111]
	v_fma_f64 v[88:89], v[88:89], s[0:1], v[92:93]
	v_fma_f64 v[120:121], v[60:61], s[22:23], v[112:113]
	v_add_f64 v[2:3], v[62:63], v[2:3]
	v_add_f64 v[106:107], v[145:146], v[141:142]
	v_mul_f64 v[114:115], v[114:115], s[8:9]
	v_add_f64 v[52:53], v[52:53], v[56:57]
	v_add_f64 v[56:57], v[84:85], v[102:103]
	v_fma_f64 v[72:73], v[72:73], s[26:27], -v[126:127]
	v_add_f64 v[78:79], v[78:79], v[108:109]
	v_mul_f64 v[82:83], v[82:83], s[20:21]
	v_add_f64 v[50:51], v[50:51], v[2:3]
	v_add_f64 v[0:1], v[88:89], v[0:1]
	;; [unrolled: 1-line block ×3, first 2 shown]
	v_fma_f64 v[98:99], v[70:71], s[6:7], v[114:115]
	v_mul_f64 v[96:97], v[104:105], s[14:15]
	v_add_f64 v[52:53], v[58:59], v[52:53]
	v_mul_f64 v[84:85], v[94:95], s[8:9]
	v_mul_lo_u32 v110, s5, v66
	v_add_f64 v[48:49], v[48:49], v[50:51]
	v_fma_f64 v[50:51], v[76:77], s[26:27], -v[86:87]
	v_fma_f64 v[76:77], v[76:77], s[26:27], v[86:87]
	v_mul_lo_u32 v104, s4, v67
	v_mad_u64_u32 v[62:63], s[4:5], s4, v66, 0
	v_add_f64 v[66:67], v[98:99], v[90:91]
	v_fma_f64 v[90:91], v[80:81], s[12:13], v[96:97]
	v_add_f64 v[48:49], v[54:55], v[48:49]
	v_add_f64 v[50:51], v[50:51], v[56:57]
	v_fma_f64 v[54:55], v[60:61], s[22:23], -v[112:113]
	v_add_f64 v[56:57], v[72:73], v[78:79]
	v_fma_f64 v[60:61], v[68:69], s[22:23], v[82:83]
	v_add_f64 v[0:1], v[76:77], v[0:1]
	v_fma_f64 v[58:59], v[68:69], s[22:23], -v[82:83]
	v_add_f64 v[44:45], v[44:45], v[52:53]
	v_add_f64 v[40:41], v[40:41], v[48:49]
	v_fma_f64 v[48:49], v[70:71], s[6:7], -v[114:115]
	v_add_f64 v[2:3], v[90:91], v[66:67]
	v_add_f64 v[54:55], v[54:55], v[56:57]
	v_fma_f64 v[56:57], v[74:75], s[6:7], v[84:85]
	v_add_f64 v[0:1], v[60:61], v[0:1]
	v_mul_f64 v[66:67], v[122:123], s[14:15]
	v_fma_f64 v[52:53], v[74:75], s[6:7], -v[84:85]
	v_add_f64 v[40:41], v[42:43], v[40:41]
	v_add_f64 v[50:51], v[58:59], v[50:51]
	;; [unrolled: 1-line block ×3, first 2 shown]
	v_fma_f64 v[42:43], v[80:81], s[12:13], -v[96:97]
	v_add_f64 v[48:49], v[48:49], v[54:55]
	v_add_f64 v[54:55], v[56:57], v[0:1]
	v_mad_u64_u32 v[56:57], s[0:1], s2, v132, 0
	v_add_f64 v[40:41], v[36:37], v[40:41]
	v_fma_f64 v[149:150], v[100:101], s[16:17], -v[167:168]
	v_fma_f64 v[46:47], v[100:101], s[12:13], -v[66:67]
	v_add_f64 v[50:51], v[52:53], v[50:51]
	v_add_f64 v[44:45], v[38:39], v[44:45]
	v_mov_b32_e32 v36, v57
	v_add_f64 v[38:39], v[42:43], v[48:49]
	v_mad_u64_u32 v[42:43], s[0:1], s3, v132, v[36:37]
	v_add3_u32 v63, v63, v104, v110
	v_add_f64 v[32:33], v[32:33], v[40:41]
	v_lshlrev_b64 v[40:41], 4, v[62:63]
	v_mov_b32_e32 v57, v42
	v_mov_b32_e32 v42, s11
	v_add_co_u32_e32 v43, vcc, s10, v40
	v_fma_f64 v[52:53], v[100:101], s[12:13], v[66:67]
	v_addc_co_u32_e32 v42, vcc, v42, v41, vcc
	v_lshlrev_b64 v[40:41], 4, v[64:65]
	v_add_f64 v[137:138], v[149:150], v[137:138]
	v_fma_f64 v[149:150], v[74:75], s[26:27], v[165:166]
	v_add_f64 v[0:1], v[46:47], v[50:51]
	v_add_f64 v[34:35], v[34:35], v[44:45]
	v_add_co_u32_e32 v46, vcc, v43, v40
	v_add_u32_e32 v44, 0x9c, v132
	v_addc_co_u32_e32 v47, vcc, v42, v41, vcc
	v_mad_u64_u32 v[42:43], s[0:1], s2, v44, 0
	v_add_u32_e32 v48, 0x138, v132
	v_add_f64 v[36:37], v[52:53], v[54:55]
	v_mad_u64_u32 v[43:44], s[0:1], s3, v44, v[43:44]
	v_lshlrev_b64 v[40:41], 4, v[56:57]
	v_mad_u64_u32 v[44:45], s[0:1], s2, v48, 0
	v_add_f64 v[143:144], v[149:150], v[143:144]
	v_fma_f64 v[149:150], v[100:101], s[16:17], v[167:168]
	v_add_co_u32_e32 v40, vcc, v46, v40
	v_addc_co_u32_e32 v41, vcc, v47, v41, vcc
	global_store_dwordx4 v[40:41], v[32:35], off
	v_add_f64 v[116:117], v[149:150], v[143:144]
	v_lshlrev_b64 v[32:33], 4, v[42:43]
	v_mov_b32_e32 v34, v45
	v_mad_u64_u32 v[34:35], s[0:1], s3, v48, v[34:35]
	v_add_co_u32_e32 v32, vcc, v46, v32
	v_addc_co_u32_e32 v33, vcc, v47, v33, vcc
	global_store_dwordx4 v[32:33], v[36:39], off
	v_mov_b32_e32 v45, v34
	v_add_u32_e32 v36, 0x1d4, v132
	v_mad_u64_u32 v[34:35], s[0:1], s2, v36, 0
	v_add_u32_e32 v38, 0x270, v132
	v_lshlrev_b64 v[32:33], 4, v[44:45]
	v_mad_u64_u32 v[35:36], s[0:1], s3, v36, v[35:36]
	v_mad_u64_u32 v[36:37], s[0:1], s2, v38, 0
	v_add_co_u32_e32 v32, vcc, v46, v32
	v_addc_co_u32_e32 v33, vcc, v47, v33, vcc
	global_store_dwordx4 v[32:33], v[116:119], off
	v_lshlrev_b64 v[32:33], 4, v[34:35]
	v_mov_b32_e32 v34, v37
	v_mad_u64_u32 v[34:35], s[0:1], s3, v38, v[34:35]
	v_add_co_u32_e32 v32, vcc, v46, v32
	v_addc_co_u32_e32 v33, vcc, v47, v33, vcc
	v_mov_b32_e32 v37, v34
	global_store_dwordx4 v[32:33], v[133:136], off
	v_lshlrev_b64 v[32:33], 4, v[36:37]
	v_add_u32_e32 v36, 0x30c, v132
	v_mad_u64_u32 v[34:35], s[0:1], s2, v36, 0
	v_add_co_u32_e32 v32, vcc, v46, v32
	v_mad_u64_u32 v[35:36], s[0:1], s3, v36, v[35:36]
	v_addc_co_u32_e32 v33, vcc, v47, v33, vcc
	v_add_u32_e32 v38, 0x3a8, v132
	v_mad_u64_u32 v[36:37], s[0:1], s2, v38, 0
	global_store_dwordx4 v[32:33], v[24:27], off
	s_nop 0
	v_lshlrev_b64 v[24:25], 4, v[34:35]
	v_mov_b32_e32 v26, v37
	v_add_co_u32_e32 v24, vcc, v46, v24
	v_addc_co_u32_e32 v25, vcc, v47, v25, vcc
	global_store_dwordx4 v[24:25], v[16:19], off
	v_add_u32_e32 v24, 0x444, v132
	v_mad_u64_u32 v[26:27], s[0:1], s3, v38, v[26:27]
	v_mad_u64_u32 v[18:19], s[0:1], s2, v24, 0
	v_mov_b32_e32 v37, v26
	v_lshlrev_b64 v[16:17], 4, v[36:37]
	v_mad_u64_u32 v[24:25], s[0:1], s3, v24, v[19:20]
	v_add_co_u32_e32 v16, vcc, v46, v16
	v_addc_co_u32_e32 v17, vcc, v47, v17, vcc
	v_add_u32_e32 v27, 0x4e0, v132
	v_mov_b32_e32 v19, v24
	v_mad_u64_u32 v[25:26], s[0:1], s2, v27, 0
	global_store_dwordx4 v[16:17], v[8:11], off
	s_nop 0
	v_lshlrev_b64 v[8:9], 4, v[18:19]
	v_mov_b32_e32 v10, v26
	v_add_co_u32_e32 v8, vcc, v46, v8
	v_addc_co_u32_e32 v9, vcc, v47, v9, vcc
	global_store_dwordx4 v[8:9], v[4:7], off
	v_add_u32_e32 v8, 0x57c, v132
	v_mad_u64_u32 v[10:11], s[0:1], s3, v27, v[10:11]
	v_mad_u64_u32 v[6:7], s[0:1], s2, v8, 0
	v_mov_b32_e32 v26, v10
	v_add_u32_e32 v10, 0x618, v132
	v_mad_u64_u32 v[7:8], s[0:1], s3, v8, v[7:8]
	v_lshlrev_b64 v[4:5], 4, v[25:26]
	v_mad_u64_u32 v[8:9], s[0:1], s2, v10, 0
	v_add_co_u32_e32 v4, vcc, v46, v4
	v_addc_co_u32_e32 v5, vcc, v47, v5, vcc
	global_store_dwordx4 v[4:5], v[12:15], off
	v_lshlrev_b64 v[4:5], 4, v[6:7]
	v_mov_b32_e32 v6, v9
	v_mad_u64_u32 v[6:7], s[0:1], s3, v10, v[6:7]
	v_add_co_u32_e32 v4, vcc, v46, v4
	v_addc_co_u32_e32 v5, vcc, v47, v5, vcc
	v_mov_b32_e32 v9, v6
	global_store_dwordx4 v[4:5], v[20:23], off
	v_lshlrev_b64 v[4:5], 4, v[8:9]
	v_add_u32_e32 v8, 0x6b4, v132
	v_mad_u64_u32 v[6:7], s[0:1], s2, v8, 0
	v_add_u32_e32 v10, 0x750, v132
	v_add_co_u32_e32 v4, vcc, v46, v4
	v_mad_u64_u32 v[7:8], s[0:1], s3, v8, v[7:8]
	v_mad_u64_u32 v[8:9], s[0:1], s2, v10, 0
	v_addc_co_u32_e32 v5, vcc, v47, v5, vcc
	global_store_dwordx4 v[4:5], v[28:31], off
	v_lshlrev_b64 v[4:5], 4, v[6:7]
	v_mov_b32_e32 v6, v9
	v_mad_u64_u32 v[6:7], s[0:1], s3, v10, v[6:7]
	v_add_co_u32_e32 v4, vcc, v46, v4
	v_addc_co_u32_e32 v5, vcc, v47, v5, vcc
	v_mov_b32_e32 v9, v6
	global_store_dwordx4 v[4:5], v[137:140], off
	v_lshlrev_b64 v[4:5], 4, v[8:9]
	v_add_co_u32_e32 v4, vcc, v46, v4
	v_addc_co_u32_e32 v5, vcc, v47, v5, vcc
	global_store_dwordx4 v[4:5], v[0:3], off
.LBB0_23:
	s_endpgm
	.section	.rodata,"a",@progbits
	.p2align	6, 0x0
	.amdhsa_kernel fft_rtc_back_len2028_factors_13_4_3_13_wgs_156_tpt_156_dp_op_CI_CI_sbrr_dirReg
		.amdhsa_group_segment_fixed_size 0
		.amdhsa_private_segment_fixed_size 0
		.amdhsa_kernarg_size 104
		.amdhsa_user_sgpr_count 6
		.amdhsa_user_sgpr_private_segment_buffer 1
		.amdhsa_user_sgpr_dispatch_ptr 0
		.amdhsa_user_sgpr_queue_ptr 0
		.amdhsa_user_sgpr_kernarg_segment_ptr 1
		.amdhsa_user_sgpr_dispatch_id 0
		.amdhsa_user_sgpr_flat_scratch_init 0
		.amdhsa_user_sgpr_private_segment_size 0
		.amdhsa_uses_dynamic_stack 0
		.amdhsa_system_sgpr_private_segment_wavefront_offset 0
		.amdhsa_system_sgpr_workgroup_id_x 1
		.amdhsa_system_sgpr_workgroup_id_y 0
		.amdhsa_system_sgpr_workgroup_id_z 0
		.amdhsa_system_sgpr_workgroup_info 0
		.amdhsa_system_vgpr_workitem_id 0
		.amdhsa_next_free_vgpr 169
		.amdhsa_next_free_sgpr 40
		.amdhsa_reserve_vcc 1
		.amdhsa_reserve_flat_scratch 0
		.amdhsa_float_round_mode_32 0
		.amdhsa_float_round_mode_16_64 0
		.amdhsa_float_denorm_mode_32 3
		.amdhsa_float_denorm_mode_16_64 3
		.amdhsa_dx10_clamp 1
		.amdhsa_ieee_mode 1
		.amdhsa_fp16_overflow 0
		.amdhsa_exception_fp_ieee_invalid_op 0
		.amdhsa_exception_fp_denorm_src 0
		.amdhsa_exception_fp_ieee_div_zero 0
		.amdhsa_exception_fp_ieee_overflow 0
		.amdhsa_exception_fp_ieee_underflow 0
		.amdhsa_exception_fp_ieee_inexact 0
		.amdhsa_exception_int_div_zero 0
	.end_amdhsa_kernel
	.text
.Lfunc_end0:
	.size	fft_rtc_back_len2028_factors_13_4_3_13_wgs_156_tpt_156_dp_op_CI_CI_sbrr_dirReg, .Lfunc_end0-fft_rtc_back_len2028_factors_13_4_3_13_wgs_156_tpt_156_dp_op_CI_CI_sbrr_dirReg
                                        ; -- End function
	.section	.AMDGPU.csdata,"",@progbits
; Kernel info:
; codeLenInByte = 13832
; NumSgprs: 44
; NumVgprs: 169
; ScratchSize: 0
; MemoryBound: 1
; FloatMode: 240
; IeeeMode: 1
; LDSByteSize: 0 bytes/workgroup (compile time only)
; SGPRBlocks: 5
; VGPRBlocks: 42
; NumSGPRsForWavesPerEU: 44
; NumVGPRsForWavesPerEU: 169
; Occupancy: 1
; WaveLimiterHint : 1
; COMPUTE_PGM_RSRC2:SCRATCH_EN: 0
; COMPUTE_PGM_RSRC2:USER_SGPR: 6
; COMPUTE_PGM_RSRC2:TRAP_HANDLER: 0
; COMPUTE_PGM_RSRC2:TGID_X_EN: 1
; COMPUTE_PGM_RSRC2:TGID_Y_EN: 0
; COMPUTE_PGM_RSRC2:TGID_Z_EN: 0
; COMPUTE_PGM_RSRC2:TIDIG_COMP_CNT: 0
	.type	__hip_cuid_c89a49c03929d75b,@object ; @__hip_cuid_c89a49c03929d75b
	.section	.bss,"aw",@nobits
	.globl	__hip_cuid_c89a49c03929d75b
__hip_cuid_c89a49c03929d75b:
	.byte	0                               ; 0x0
	.size	__hip_cuid_c89a49c03929d75b, 1

	.ident	"AMD clang version 19.0.0git (https://github.com/RadeonOpenCompute/llvm-project roc-6.4.0 25133 c7fe45cf4b819c5991fe208aaa96edf142730f1d)"
	.section	".note.GNU-stack","",@progbits
	.addrsig
	.addrsig_sym __hip_cuid_c89a49c03929d75b
	.amdgpu_metadata
---
amdhsa.kernels:
  - .args:
      - .actual_access:  read_only
        .address_space:  global
        .offset:         0
        .size:           8
        .value_kind:     global_buffer
      - .offset:         8
        .size:           8
        .value_kind:     by_value
      - .actual_access:  read_only
        .address_space:  global
        .offset:         16
        .size:           8
        .value_kind:     global_buffer
      - .actual_access:  read_only
        .address_space:  global
        .offset:         24
        .size:           8
        .value_kind:     global_buffer
      - .actual_access:  read_only
        .address_space:  global
        .offset:         32
        .size:           8
        .value_kind:     global_buffer
      - .offset:         40
        .size:           8
        .value_kind:     by_value
      - .actual_access:  read_only
        .address_space:  global
        .offset:         48
        .size:           8
        .value_kind:     global_buffer
      - .actual_access:  read_only
        .address_space:  global
        .offset:         56
        .size:           8
        .value_kind:     global_buffer
      - .offset:         64
        .size:           4
        .value_kind:     by_value
      - .actual_access:  read_only
        .address_space:  global
        .offset:         72
        .size:           8
        .value_kind:     global_buffer
      - .actual_access:  read_only
        .address_space:  global
        .offset:         80
        .size:           8
        .value_kind:     global_buffer
      - .actual_access:  read_only
        .address_space:  global
        .offset:         88
        .size:           8
        .value_kind:     global_buffer
      - .actual_access:  write_only
        .address_space:  global
        .offset:         96
        .size:           8
        .value_kind:     global_buffer
    .group_segment_fixed_size: 0
    .kernarg_segment_align: 8
    .kernarg_segment_size: 104
    .language:       OpenCL C
    .language_version:
      - 2
      - 0
    .max_flat_workgroup_size: 156
    .name:           fft_rtc_back_len2028_factors_13_4_3_13_wgs_156_tpt_156_dp_op_CI_CI_sbrr_dirReg
    .private_segment_fixed_size: 0
    .sgpr_count:     44
    .sgpr_spill_count: 0
    .symbol:         fft_rtc_back_len2028_factors_13_4_3_13_wgs_156_tpt_156_dp_op_CI_CI_sbrr_dirReg.kd
    .uniform_work_group_size: 1
    .uses_dynamic_stack: false
    .vgpr_count:     169
    .vgpr_spill_count: 0
    .wavefront_size: 64
amdhsa.target:   amdgcn-amd-amdhsa--gfx906
amdhsa.version:
  - 1
  - 2
...

	.end_amdgpu_metadata
